;; amdgpu-corpus repo=ROCm/rocFFT kind=compiled arch=gfx1201 opt=O3
	.text
	.amdgcn_target "amdgcn-amd-amdhsa--gfx1201"
	.amdhsa_code_object_version 6
	.protected	bluestein_single_back_len450_dim1_sp_op_CI_CI ; -- Begin function bluestein_single_back_len450_dim1_sp_op_CI_CI
	.globl	bluestein_single_back_len450_dim1_sp_op_CI_CI
	.p2align	8
	.type	bluestein_single_back_len450_dim1_sp_op_CI_CI,@function
bluestein_single_back_len450_dim1_sp_op_CI_CI: ; @bluestein_single_back_len450_dim1_sp_op_CI_CI
; %bb.0:
	s_load_b128 s[12:15], s[0:1], 0x28
	v_mul_u32_u24_e32 v1, 0x889, v0
	v_mov_b32_e32 v109, 0
	s_mov_b32 s2, exec_lo
	s_delay_alu instid0(VALU_DEP_2) | instskip(NEXT) | instid1(VALU_DEP_1)
	v_lshrrev_b32_e32 v2, 16, v1
	v_lshl_add_u32 v108, ttmp9, 2, v2
	s_wait_kmcnt 0x0
	s_delay_alu instid0(VALU_DEP_1)
	v_cmpx_gt_u64_e64 s[12:13], v[108:109]
	s_cbranch_execz .LBB0_15
; %bb.1:
	s_clause 0x1
	s_load_b128 s[4:7], s[0:1], 0x18
	s_load_b64 s[12:13], s[0:1], 0x0
	v_mul_lo_u16 v1, v2, 30
	s_delay_alu instid0(VALU_DEP_1) | instskip(NEXT) | instid1(VALU_DEP_1)
	v_sub_nc_u16 v27, v0, v1
	v_and_b32_e32 v129, 0xffff, v27
	s_wait_kmcnt 0x0
	s_load_b128 s[8:11], s[4:5], 0x0
	s_wait_kmcnt 0x0
	v_mad_co_u64_u32 v[0:1], null, s10, v108, 0
	v_mad_co_u64_u32 v[3:4], null, s8, v129, 0
	s_mul_u64 s[2:3], s[8:9], 45
	s_delay_alu instid0(VALU_DEP_2) | instskip(SKIP_1) | instid1(VALU_DEP_1)
	v_mad_co_u64_u32 v[5:6], null, s11, v108, v[1:2]
	s_load_b64 s[10:11], s[0:1], 0x38
	v_mad_co_u64_u32 v[6:7], null, s9, v129, v[4:5]
	s_delay_alu instid0(VALU_DEP_1)
	v_dual_mov_b32 v4, v6 :: v_dual_mov_b32 v1, v5
	v_lshlrev_b32_e32 v28, 3, v129
	s_clause 0x3
	global_load_b64 v[119:120], v28, s[12:13]
	global_load_b64 v[127:128], v28, s[12:13] offset:360
	global_load_b64 v[113:114], v28, s[12:13] offset:720
	;; [unrolled: 1-line block ×3, first 2 shown]
	v_lshlrev_b64_e32 v[0:1], 3, v[0:1]
	v_lshlrev_b64_e32 v[3:4], 3, v[3:4]
	s_clause 0x3
	global_load_b64 v[125:126], v28, s[12:13] offset:1440
	global_load_b64 v[111:112], v28, s[12:13] offset:1800
	global_load_b64 v[115:116], v28, s[12:13] offset:2160
	global_load_b64 v[109:110], v28, s[12:13] offset:2520
	v_add_co_u32 v0, vcc_lo, s14, v0
	v_add_co_ci_u32_e32 v1, vcc_lo, s15, v1, vcc_lo
	s_lshl_b64 s[14:15], s[2:3], 3
	s_delay_alu instid0(VALU_DEP_2) | instskip(SKIP_1) | instid1(VALU_DEP_2)
	v_add_co_u32 v0, vcc_lo, v0, v3
	s_wait_alu 0xfffd
	v_add_co_ci_u32_e32 v1, vcc_lo, v1, v4, vcc_lo
	v_add_co_u32 v106, s2, s12, v28
	s_wait_alu 0xfffe
	v_add_co_u32 v3, vcc_lo, v0, s14
	s_wait_alu 0xfffd
	v_add_co_ci_u32_e32 v4, vcc_lo, s15, v1, vcc_lo
	v_add_co_ci_u32_e64 v107, null, s13, 0, s2
	s_delay_alu instid0(VALU_DEP_3) | instskip(SKIP_1) | instid1(VALU_DEP_3)
	v_add_co_u32 v5, vcc_lo, v3, s14
	s_wait_alu 0xfffd
	v_add_co_ci_u32_e32 v6, vcc_lo, s15, v4, vcc_lo
	s_clause 0x1
	global_load_b64 v[7:8], v[0:1], off
	global_load_b64 v[3:4], v[3:4], off
	v_add_co_u32 v0, vcc_lo, v5, s14
	s_wait_alu 0xfffd
	v_add_co_ci_u32_e32 v1, vcc_lo, s15, v6, vcc_lo
	global_load_b64 v[5:6], v[5:6], off
	v_add_co_u32 v9, vcc_lo, v0, s14
	global_load_b64 v[11:12], v[0:1], off
	s_wait_alu 0xfffd
	v_add_co_ci_u32_e32 v10, vcc_lo, s15, v1, vcc_lo
	v_add_co_u32 v0, vcc_lo, v9, s14
	v_and_b32_e32 v2, 3, v2
	s_wait_alu 0xfffd
	s_delay_alu instid0(VALU_DEP_3) | instskip(NEXT) | instid1(VALU_DEP_3)
	v_add_co_ci_u32_e32 v1, vcc_lo, s15, v10, vcc_lo
	v_add_co_u32 v13, vcc_lo, v0, s14
	global_load_b64 v[9:10], v[9:10], off
	s_wait_alu 0xfffd
	v_add_co_ci_u32_e32 v14, vcc_lo, s15, v1, vcc_lo
	global_load_b64 v[15:16], v[0:1], off
	v_add_co_u32 v0, vcc_lo, v13, s14
	s_wait_alu 0xfffd
	v_add_co_ci_u32_e32 v1, vcc_lo, s15, v14, vcc_lo
	global_load_b64 v[13:14], v[13:14], off
	v_add_co_u32 v17, vcc_lo, v0, s14
	;; [unrolled: 4-line block ×3, first 2 shown]
	s_wait_alu 0xfffd
	v_add_co_ci_u32_e32 v1, vcc_lo, s15, v18, vcc_lo
	global_load_b64 v[17:18], v[17:18], off
	s_clause 0x1
	global_load_b64 v[121:122], v28, s[12:13] offset:2880
	global_load_b64 v[123:124], v28, s[12:13] offset:3240
	global_load_b64 v[21:22], v[0:1], off
	s_load_b128 s[4:7], s[6:7], 0x0
	v_cmp_gt_u16_e32 vcc_lo, 15, v27
	s_wait_loadcnt 0xb
	v_mul_f32_e32 v23, v8, v120
	v_mul_u32_u24_e32 v2, 0x1c2, v2
	s_wait_loadcnt 0xa
	v_mul_f32_e32 v26, v3, v128
	s_delay_alu instid0(VALU_DEP_3) | instskip(NEXT) | instid1(VALU_DEP_3)
	v_fmac_f32_e32 v23, v7, v119
	v_dual_mul_f32 v2, v7, v120 :: v_dual_lshlrev_b32 v131, 3, v2
	s_delay_alu instid0(VALU_DEP_1) | instskip(SKIP_1) | instid1(VALU_DEP_3)
	v_add_nc_u32_e32 v130, v131, v28
	v_mul_f32_e32 v25, v4, v128
	v_fma_f32 v24, v8, v119, -v2
	s_delay_alu instid0(VALU_DEP_2)
	v_dual_fmac_f32 v25, v3, v127 :: v_dual_add_nc_u32 v2, 0x800, v130
	s_wait_loadcnt 0x9
	v_mul_f32_e32 v3, v6, v114
	v_fma_f32 v26, v4, v127, -v26
	v_mul_f32_e32 v4, v5, v114
	s_wait_loadcnt 0x7
	v_mul_f32_e32 v7, v10, v126
	v_dual_mul_f32 v8, v11, v118 :: v_dual_fmac_f32 v3, v5, v113
	v_mul_f32_e32 v5, v12, v118
	v_fma_f32 v4, v6, v113, -v4
	s_delay_alu instid0(VALU_DEP_4) | instskip(NEXT) | instid1(VALU_DEP_4)
	v_fmac_f32_e32 v7, v9, v125
	v_fma_f32 v6, v12, v117, -v8
	s_wait_loadcnt 0x5
	v_mul_f32_e32 v12, v13, v116
	ds_store_2addr_b64 v130, v[23:24], v[25:26] offset1:45
	v_mul_f32_e32 v23, v9, v126
	v_mul_f32_e32 v9, v16, v112
	v_fma_f32 v12, v14, v115, -v12
	s_delay_alu instid0(VALU_DEP_3)
	v_fma_f32 v8, v10, v125, -v23
	v_mul_f32_e32 v10, v15, v112
	v_fmac_f32_e32 v5, v11, v117
	s_wait_loadcnt 0x4
	v_dual_mul_f32 v11, v14, v116 :: v_dual_mul_f32 v14, v19, v110
	v_fmac_f32_e32 v9, v15, v111
	v_mul_f32_e32 v15, v20, v110
	s_wait_loadcnt 0x2
	v_mul_f32_e32 v23, v17, v122
	v_fmac_f32_e32 v11, v13, v115
	s_wait_loadcnt 0x0
	v_dual_mul_f32 v13, v18, v122 :: v_dual_mul_f32 v24, v21, v124
	v_fmac_f32_e32 v15, v19, v109
	v_mul_f32_e32 v19, v22, v124
	v_fma_f32 v10, v16, v111, -v10
	v_fma_f32 v16, v20, v109, -v14
	v_fmac_f32_e32 v13, v17, v121
	v_fma_f32 v14, v18, v121, -v23
	v_fmac_f32_e32 v19, v21, v123
	v_fma_f32 v20, v22, v123, -v24
	ds_store_2addr_b64 v130, v[3:4], v[5:6] offset0:90 offset1:135
	ds_store_2addr_b64 v130, v[7:8], v[9:10] offset0:180 offset1:225
	;; [unrolled: 1-line block ×4, first 2 shown]
	s_and_saveexec_b32 s3, vcc_lo
	s_cbranch_execz .LBB0_3
; %bb.2:
	v_mad_co_u64_u32 v[0:1], null, 0xfffff448, s8, v[0:1]
	s_mul_i32 s2, s9, 0xfffff448
	s_clause 0x3
	global_load_b64 v[3:4], v[106:107], off offset:240
	global_load_b64 v[5:6], v[106:107], off offset:600
	;; [unrolled: 1-line block ×4, first 2 shown]
	s_wait_alu 0xfffe
	s_sub_co_i32 s2, s2, s8
	global_load_b64 v[13:14], v[106:107], off offset:1680
	s_wait_alu 0xfffe
	v_add_nc_u32_e32 v1, s2, v1
	v_add_co_u32 v11, s2, v0, s14
	s_wait_alu 0xf1ff
	s_delay_alu instid0(VALU_DEP_2) | instskip(NEXT) | instid1(VALU_DEP_2)
	v_add_co_ci_u32_e64 v12, s2, s15, v1, s2
	v_add_co_u32 v15, s2, v11, s14
	global_load_b64 v[0:1], v[0:1], off
	s_wait_alu 0xf1ff
	v_add_co_ci_u32_e64 v16, s2, s15, v12, s2
	v_add_co_u32 v17, s2, v15, s14
	global_load_b64 v[11:12], v[11:12], off
	s_wait_alu 0xf1ff
	;; [unrolled: 4-line block ×5, first 2 shown]
	v_add_co_ci_u32_e64 v24, s2, s15, v22, s2
	v_add_co_u32 v25, s2, v23, s14
	s_wait_alu 0xf1ff
	s_delay_alu instid0(VALU_DEP_2)
	v_add_co_ci_u32_e64 v26, s2, s15, v24, s2
	s_clause 0x1
	global_load_b64 v[27:28], v[106:107], off offset:2040
	global_load_b64 v[29:30], v[106:107], off offset:2400
	global_load_b64 v[21:22], v[21:22], off
	global_load_b64 v[23:24], v[23:24], off
	;; [unrolled: 1-line block ×3, first 2 shown]
	v_add_co_u32 v25, s2, v25, s14
	s_wait_alu 0xf1ff
	v_add_co_ci_u32_e64 v26, s2, s15, v26, s2
	global_load_b64 v[33:34], v[106:107], off offset:2760
	v_add_co_u32 v35, s2, v25, s14
	s_wait_alu 0xf1ff
	v_add_co_ci_u32_e64 v36, s2, s15, v26, s2
	global_load_b64 v[25:26], v[25:26], off
	s_clause 0x1
	global_load_b64 v[37:38], v[106:107], off offset:3120
	global_load_b64 v[39:40], v[106:107], off offset:3480
	global_load_b64 v[35:36], v[35:36], off
	s_wait_loadcnt 0xe
	v_mul_f32_e32 v42, v0, v4
	s_wait_loadcnt 0xd
	v_dual_mul_f32 v41, v1, v4 :: v_dual_mul_f32 v4, v12, v6
	s_delay_alu instid0(VALU_DEP_1) | instskip(NEXT) | instid1(VALU_DEP_3)
	v_dual_mul_f32 v6, v11, v6 :: v_dual_fmac_f32 v41, v0, v3
	v_fma_f32 v42, v1, v3, -v42
	s_wait_loadcnt 0xc
	v_mul_f32_e32 v0, v16, v8
	v_mul_f32_e32 v1, v15, v8
	v_fmac_f32_e32 v4, v11, v5
	v_fma_f32 v5, v12, v5, -v6
	s_wait_loadcnt 0xb
	v_dual_mul_f32 v3, v17, v10 :: v_dual_fmac_f32 v0, v15, v7
	v_mul_f32_e32 v6, v18, v10
	v_fma_f32 v1, v16, v7, -v1
	s_wait_loadcnt 0xa
	v_mul_f32_e32 v8, v20, v14
	s_delay_alu instid0(VALU_DEP_3) | instskip(SKIP_1) | instid1(VALU_DEP_3)
	v_dual_mul_f32 v11, v19, v14 :: v_dual_fmac_f32 v6, v17, v9
	v_fma_f32 v7, v18, v9, -v3
	v_fmac_f32_e32 v8, v19, v13
	s_wait_loadcnt 0x7
	v_mul_f32_e32 v10, v22, v28
	v_mul_f32_e32 v3, v21, v28
	v_fma_f32 v9, v20, v13, -v11
	s_wait_loadcnt 0x6
	v_mul_f32_e32 v13, v23, v30
	v_mul_f32_e32 v12, v24, v30
	v_fmac_f32_e32 v10, v21, v27
	v_fma_f32 v11, v22, v27, -v3
	s_wait_loadcnt 0x4
	v_mul_f32_e32 v3, v31, v34
	v_mul_f32_e32 v14, v32, v34
	v_fmac_f32_e32 v12, v23, v29
	s_wait_loadcnt 0x2
	v_mul_f32_e32 v16, v26, v38
	s_wait_loadcnt 0x0
	v_dual_mul_f32 v17, v25, v38 :: v_dual_mul_f32 v18, v36, v40
	v_mul_f32_e32 v19, v35, v40
	v_fma_f32 v13, v24, v29, -v13
	v_fmac_f32_e32 v14, v31, v33
	v_fma_f32 v15, v32, v33, -v3
	v_fmac_f32_e32 v16, v25, v37
	v_fma_f32 v17, v26, v37, -v17
	v_fmac_f32_e32 v18, v35, v39
	v_fma_f32 v19, v36, v39, -v19
	ds_store_2addr_b64 v130, v[41:42], v[4:5] offset0:30 offset1:75
	ds_store_2addr_b64 v130, v[0:1], v[6:7] offset0:120 offset1:165
	;; [unrolled: 1-line block ×5, first 2 shown]
.LBB0_3:
	s_wait_alu 0xfffe
	s_or_b32 exec_lo, exec_lo, s3
	global_wb scope:SCOPE_SE
	s_wait_dscnt 0x0
	s_wait_kmcnt 0x0
	s_barrier_signal -1
	s_barrier_wait -1
	global_inv scope:SCOPE_SE
	ds_load_2addr_b64 v[20:23], v130 offset1:45
	ds_load_2addr_b64 v[32:35], v130 offset0:90 offset1:135
	ds_load_2addr_b64 v[36:39], v130 offset0:180 offset1:225
	;; [unrolled: 1-line block ×4, first 2 shown]
	s_load_b64 s[2:3], s[0:1], 0x8
                                        ; implicit-def: $vgpr0
                                        ; implicit-def: $vgpr12
                                        ; implicit-def: $vgpr16
                                        ; implicit-def: $vgpr8
                                        ; implicit-def: $vgpr4
	s_and_saveexec_b32 s0, vcc_lo
	s_cbranch_execz .LBB0_5
; %bb.4:
	v_add_nc_u32_e32 v4, 0x800, v130
	ds_load_2addr_b64 v[0:3], v130 offset0:30 offset1:75
	ds_load_2addr_b64 v[12:15], v130 offset0:120 offset1:165
	;; [unrolled: 1-line block ×5, first 2 shown]
.LBB0_5:
	s_wait_alu 0xfffe
	s_or_b32 exec_lo, exec_lo, s0
	s_wait_dscnt 0x0
	v_dual_add_f32 v40, v36, v28 :: v_dual_sub_f32 v43, v33, v25
	v_dual_add_f32 v41, v20, v32 :: v_dual_sub_f32 v44, v37, v29
	v_dual_sub_f32 v42, v24, v28 :: v_dual_add_f32 v51, v37, v29
	s_delay_alu instid0(VALU_DEP_3) | instskip(SKIP_3) | instid1(VALU_DEP_4)
	v_fma_f32 v46, -0.5, v40, v20
	v_add_f32_e32 v45, v32, v24
	v_sub_f32_e32 v40, v32, v36
	v_add_co_u32 v54, s0, v129, 30
	v_fmamk_f32 v47, v43, 0x3f737871, v46
	v_fmac_f32_e32 v46, 0xbf737871, v43
	v_fma_f32 v20, -0.5, v45, v20
	v_dual_add_f32 v41, v41, v36 :: v_dual_add_f32 v40, v40, v42
	s_delay_alu instid0(VALU_DEP_4) | instskip(NEXT) | instid1(VALU_DEP_3)
	v_dual_fmac_f32 v47, 0x3f167918, v44 :: v_dual_add_f32 v50, v21, v33
	v_fmamk_f32 v45, v44, 0xbf737871, v20
	v_fmac_f32_e32 v20, 0x3f737871, v44
	v_sub_f32_e32 v48, v36, v32
	v_sub_f32_e32 v49, v28, v24
	v_fmac_f32_e32 v46, 0xbf167918, v44
	s_wait_alu 0xf1ff
	v_add_co_ci_u32_e64 v42, null, 0, 0, s0
	v_dual_fmac_f32 v20, 0xbf167918, v43 :: v_dual_add_f32 v41, v41, v28
	v_add_f32_e32 v48, v48, v49
	v_dual_add_f32 v44, v50, v37 :: v_dual_fmac_f32 v47, 0x3e9e377a, v40
	v_fmac_f32_e32 v46, 0x3e9e377a, v40
	s_delay_alu instid0(VALU_DEP_4) | instskip(SKIP_1) | instid1(VALU_DEP_4)
	v_add_f32_e32 v41, v41, v24
	v_sub_f32_e32 v24, v32, v24
	v_add_f32_e32 v32, v44, v29
	v_dual_add_f32 v40, v33, v25 :: v_dual_fmac_f32 v45, 0x3f167918, v43
	v_fma_f32 v50, -0.5, v51, v21
	v_dual_sub_f32 v43, v25, v29 :: v_dual_fmac_f32 v20, 0x3e9e377a, v48
	v_mul_u32_u24_e32 v133, 10, v54
	s_delay_alu instid0(VALU_DEP_4)
	v_fmac_f32_e32 v45, 0x3e9e377a, v48
	v_fma_f32 v48, -0.5, v40, v21
	v_add_f32_e32 v21, v32, v25
	v_dual_sub_f32 v25, v29, v25 :: v_dual_sub_f32 v28, v36, v28
	v_sub_f32_e32 v36, v33, v37
	v_dual_sub_f32 v33, v37, v33 :: v_dual_fmamk_f32 v44, v24, 0xbf737871, v50
	v_dual_add_f32 v29, v22, v34 :: v_dual_fmac_f32 v50, 0x3f737871, v24
	global_wb scope:SCOPE_SE
	v_add_f32_e32 v25, v33, v25
	v_fmamk_f32 v51, v28, 0x3f737871, v48
	v_fmac_f32_e32 v48, 0xbf737871, v28
	v_add_f32_e32 v32, v36, v43
	v_fmac_f32_e32 v44, 0xbf167918, v28
	s_delay_alu instid0(VALU_DEP_4) | instskip(NEXT) | instid1(VALU_DEP_4)
	v_dual_sub_f32 v36, v26, v30 :: v_dual_fmac_f32 v51, 0xbf167918, v24
	v_dual_fmac_f32 v48, 0x3f167918, v24 :: v_dual_sub_f32 v33, v34, v38
	v_sub_f32_e32 v43, v30, v26
	s_wait_kmcnt 0x0
	s_barrier_signal -1
	v_fmac_f32_e32 v51, 0x3e9e377a, v25
	v_dual_fmac_f32 v48, 0x3e9e377a, v25 :: v_dual_add_f32 v33, v33, v36
	v_dual_sub_f32 v25, v39, v31 :: v_dual_fmac_f32 v50, 0x3f167918, v28
	v_add_f32_e32 v28, v29, v38
	v_add_f32_e32 v29, v38, v30
	v_sub_f32_e32 v40, v38, v34
	s_barrier_wait -1
	v_fmac_f32_e32 v50, 0x3e9e377a, v32
	v_add_f32_e32 v24, v28, v30
	v_fma_f32 v28, -0.5, v29, v22
	v_dual_add_f32 v29, v34, v26 :: v_dual_fmac_f32 v44, 0x3e9e377a, v32
	v_sub_f32_e32 v30, v38, v30
	global_inv scope:SCOPE_SE
	v_fma_f32 v22, -0.5, v29, v22
	s_delay_alu instid0(VALU_DEP_1) | instskip(NEXT) | instid1(VALU_DEP_1)
	v_dual_sub_f32 v32, v35, v27 :: v_dual_fmamk_f32 v37, v25, 0xbf737871, v22
	v_fmamk_f32 v29, v32, 0x3f737871, v28
	v_add_f32_e32 v24, v24, v26
	v_fmac_f32_e32 v22, 0x3f737871, v25
	v_sub_f32_e32 v26, v34, v26
	v_fmac_f32_e32 v28, 0xbf737871, v32
	v_fmac_f32_e32 v29, 0x3f167918, v25
	;; [unrolled: 1-line block ×3, first 2 shown]
	s_delay_alu instid0(VALU_DEP_2) | instskip(SKIP_4) | instid1(VALU_DEP_2)
	v_fmac_f32_e32 v29, 0x3e9e377a, v33
	v_fmac_f32_e32 v22, 0xbf167918, v32
	v_add_f32_e32 v32, v35, v27
	v_dual_fmac_f32 v28, 0xbf167918, v25 :: v_dual_add_f32 v25, v39, v31
	v_sub_f32_e32 v38, v27, v31
	v_dual_fmac_f32 v28, 0x3e9e377a, v33 :: v_dual_add_f32 v33, v23, v35
	s_delay_alu instid0(VALU_DEP_3) | instskip(NEXT) | instid1(VALU_DEP_2)
	v_fma_f32 v25, -0.5, v25, v23
	v_dual_fmac_f32 v23, -0.5, v32 :: v_dual_add_f32 v32, v33, v39
	s_delay_alu instid0(VALU_DEP_2) | instskip(NEXT) | instid1(VALU_DEP_2)
	v_dual_fmamk_f32 v33, v26, 0xbf737871, v25 :: v_dual_add_f32 v36, v40, v43
	v_fmamk_f32 v40, v30, 0x3f737871, v23
	v_dual_fmac_f32 v23, 0xbf737871, v30 :: v_dual_sub_f32 v34, v35, v39
	s_delay_alu instid0(VALU_DEP_3) | instskip(SKIP_2) | instid1(VALU_DEP_4)
	v_fmac_f32_e32 v33, 0xbf167918, v30
	v_mul_f32_e32 v43, 0x3f4f1bbd, v29
	v_fmac_f32_e32 v37, 0x3e9e377a, v36
	v_dual_sub_f32 v35, v39, v35 :: v_dual_add_f32 v34, v34, v38
	v_mul_f32_e32 v29, 0xbf167918, v29
	v_fmac_f32_e32 v22, 0x3e9e377a, v36
	s_delay_alu instid0(VALU_DEP_4) | instskip(NEXT) | instid1(VALU_DEP_4)
	v_dual_sub_f32 v36, v31, v27 :: v_dual_mul_f32 v53, 0xbf737871, v37
	v_fmac_f32_e32 v33, 0x3e9e377a, v34
	s_delay_alu instid0(VALU_DEP_2) | instskip(SKIP_1) | instid1(VALU_DEP_3)
	v_add_f32_e32 v35, v35, v36
	v_fmac_f32_e32 v25, 0x3f737871, v26
	v_fmac_f32_e32 v29, 0x3f4f1bbd, v33
	;; [unrolled: 1-line block ×5, first 2 shown]
	s_delay_alu instid0(VALU_DEP_3) | instskip(NEXT) | instid1(VALU_DEP_3)
	v_dual_add_f32 v33, v44, v29 :: v_dual_fmac_f32 v40, 0x3e9e377a, v35
	v_fmac_f32_e32 v23, 0x3e9e377a, v35
	v_fmac_f32_e32 v25, 0x3f167918, v30
	v_mul_f32_e32 v30, 0x3e9e377a, v22
	s_delay_alu instid0(VALU_DEP_4) | instskip(NEXT) | instid1(VALU_DEP_3)
	v_dual_mul_f32 v49, 0x3f737871, v40 :: v_dual_add_f32 v26, v32, v31
	v_fmac_f32_e32 v25, 0x3e9e377a, v34
	v_mul_f32_e32 v31, 0x3f4f1bbd, v28
	s_delay_alu instid0(VALU_DEP_3) | instskip(SKIP_1) | instid1(VALU_DEP_3)
	v_dual_fmac_f32 v49, 0x3e9e377a, v37 :: v_dual_add_f32 v26, v26, v27
	v_fma_f32 v27, 0x3f737871, v23, -v30
	v_fma_f32 v52, 0x3f167918, v25, -v31
	v_mul_f32_e32 v23, 0x3e9e377a, v23
	v_dual_mul_f32 v25, 0x3f4f1bbd, v25 :: v_dual_add_f32 v30, v41, v24
	s_delay_alu instid0(VALU_DEP_4) | instskip(SKIP_1) | instid1(VALU_DEP_4)
	v_add_f32_e32 v36, v20, v27
	v_add_f32_e32 v32, v47, v43
	v_fma_f32 v22, 0xbf737871, v22, -v23
	s_delay_alu instid0(VALU_DEP_4) | instskip(SKIP_2) | instid1(VALU_DEP_3)
	v_fma_f32 v23, 0xbf167918, v28, -v25
	v_dual_add_f32 v34, v45, v49 :: v_dual_fmac_f32 v53, 0x3e9e377a, v40
	v_sub_f32_e32 v40, v41, v24
	v_dual_add_f32 v24, v16, v8 :: v_dual_add_f32 v39, v50, v23
	v_dual_sub_f32 v43, v47, v43 :: v_dual_sub_f32 v44, v44, v29
	v_add_f32_e32 v29, v12, v4
	v_add_f32_e32 v25, v0, v12
	v_sub_f32_e32 v47, v20, v27
	v_fma_f32 v20, -0.5, v24, v0
	v_dual_sub_f32 v27, v13, v5 :: v_dual_sub_f32 v28, v4, v8
	v_add_f32_e32 v31, v21, v26
	v_sub_f32_e32 v45, v45, v49
	v_fmac_f32_e32 v0, -0.5, v29
	v_add_f32_e32 v24, v25, v16
	v_sub_f32_e32 v41, v21, v26
	v_dual_sub_f32 v25, v17, v9 :: v_dual_sub_f32 v50, v50, v23
	v_dual_sub_f32 v26, v12, v16 :: v_dual_fmamk_f32 v21, v27, 0x3f737871, v20
	v_add_f32_e32 v37, v48, v22
	v_dual_sub_f32 v49, v46, v52 :: v_dual_sub_f32 v48, v48, v22
	v_add_f32_e32 v22, v24, v8
	s_delay_alu instid0(VALU_DEP_4) | instskip(SKIP_2) | instid1(VALU_DEP_4)
	v_dual_add_f32 v26, v26, v28 :: v_dual_fmac_f32 v21, 0x3f167918, v25
	v_dual_add_f32 v38, v46, v52 :: v_dual_add_f32 v35, v51, v53
	v_sub_f32_e32 v46, v51, v53
	v_add_f32_e32 v22, v22, v4
	v_fmac_f32_e32 v20, 0xbf737871, v27
	v_dual_fmac_f32 v21, 0x3e9e377a, v26 :: v_dual_sub_f32 v24, v16, v12
	v_dual_fmamk_f32 v23, v25, 0xbf737871, v0 :: v_dual_sub_f32 v28, v8, v4
	v_add_f32_e32 v29, v1, v13
	v_dual_add_f32 v51, v17, v9 :: v_dual_sub_f32 v4, v12, v4
	v_fmac_f32_e32 v20, 0xbf167918, v25
	s_delay_alu instid0(VALU_DEP_4)
	v_add_f32_e32 v28, v24, v28
	v_fmac_f32_e32 v0, 0x3f737871, v25
	v_add_f32_e32 v25, v29, v17
	v_fma_f32 v24, -0.5, v51, v1
	v_fmac_f32_e32 v20, 0x3e9e377a, v26
	v_dual_fmac_f32 v23, 0x3f167918, v27 :: v_dual_add_f32 v26, v13, v5
	s_delay_alu instid0(VALU_DEP_4) | instskip(NEXT) | instid1(VALU_DEP_4)
	v_dual_fmac_f32 v0, 0xbf167918, v27 :: v_dual_add_f32 v25, v25, v9
	v_dual_fmamk_f32 v12, v4, 0xbf737871, v24 :: v_dual_sub_f32 v27, v5, v9
	s_delay_alu instid0(VALU_DEP_3) | instskip(NEXT) | instid1(VALU_DEP_3)
	v_dual_sub_f32 v8, v16, v8 :: v_dual_fmac_f32 v1, -0.5, v26
	v_dual_add_f32 v25, v25, v5 :: v_dual_fmac_f32 v24, 0x3f737871, v4
	s_delay_alu instid0(VALU_DEP_2) | instskip(SKIP_4) | instid1(VALU_DEP_4)
	v_dual_sub_f32 v5, v9, v5 :: v_dual_fmac_f32 v12, 0xbf167918, v8
	v_add_f32_e32 v9, v2, v14
	v_dual_fmac_f32 v23, 0x3e9e377a, v28 :: v_dual_sub_f32 v16, v13, v17
	v_fmamk_f32 v26, v8, 0x3f737871, v1
	v_fmac_f32_e32 v24, 0x3f167918, v8
	v_dual_fmac_f32 v1, 0xbf737871, v8 :: v_dual_add_f32 v8, v9, v18
	v_dual_add_f32 v9, v18, v10 :: v_dual_fmac_f32 v0, 0x3e9e377a, v28
	v_dual_sub_f32 v13, v17, v13 :: v_dual_add_f32 v16, v16, v27
	v_fmac_f32_e32 v26, 0xbf167918, v4
	s_delay_alu instid0(VALU_DEP_4) | instskip(NEXT) | instid1(VALU_DEP_4)
	v_dual_fmac_f32 v1, 0x3f167918, v4 :: v_dual_add_f32 v4, v8, v10
	v_fma_f32 v8, -0.5, v9, v2
	v_add_f32_e32 v9, v14, v6
	v_dual_add_f32 v5, v13, v5 :: v_dual_fmac_f32 v12, 0x3e9e377a, v16
	s_delay_alu instid0(VALU_DEP_4) | instskip(SKIP_1) | instid1(VALU_DEP_4)
	v_dual_add_f32 v13, v4, v6 :: v_dual_fmac_f32 v24, 0x3e9e377a, v16
	v_dual_sub_f32 v17, v6, v10 :: v_dual_sub_f32 v4, v19, v11
	v_fmac_f32_e32 v2, -0.5, v9
	s_delay_alu instid0(VALU_DEP_4) | instskip(SKIP_2) | instid1(VALU_DEP_4)
	v_dual_sub_f32 v16, v15, v7 :: v_dual_fmac_f32 v1, 0x3e9e377a, v5
	v_dual_sub_f32 v9, v14, v18 :: v_dual_fmac_f32 v26, 0x3e9e377a, v5
	v_sub_f32_e32 v27, v18, v14
	v_fmamk_f32 v29, v4, 0xbf737871, v2
	s_delay_alu instid0(VALU_DEP_4) | instskip(NEXT) | instid1(VALU_DEP_4)
	v_fmamk_f32 v5, v16, 0x3f737871, v8
	v_dual_fmac_f32 v8, 0xbf737871, v16 :: v_dual_add_f32 v9, v9, v17
	s_delay_alu instid0(VALU_DEP_3) | instskip(NEXT) | instid1(VALU_DEP_3)
	v_dual_sub_f32 v28, v10, v6 :: v_dual_fmac_f32 v29, 0x3f167918, v16
	v_fmac_f32_e32 v5, 0x3f167918, v4
	s_delay_alu instid0(VALU_DEP_3) | instskip(NEXT) | instid1(VALU_DEP_3)
	v_fmac_f32_e32 v8, 0xbf167918, v4
	v_dual_sub_f32 v6, v14, v6 :: v_dual_add_f32 v17, v27, v28
	s_delay_alu instid0(VALU_DEP_3) | instskip(NEXT) | instid1(VALU_DEP_3)
	v_dual_sub_f32 v10, v18, v10 :: v_dual_fmac_f32 v5, 0x3e9e377a, v9
	v_dual_fmac_f32 v8, 0x3e9e377a, v9 :: v_dual_add_f32 v9, v15, v7
	v_fmac_f32_e32 v2, 0x3f737871, v4
	s_delay_alu instid0(VALU_DEP_4) | instskip(NEXT) | instid1(VALU_DEP_4)
	v_dual_add_f32 v4, v19, v11 :: v_dual_fmac_f32 v29, 0x3e9e377a, v17
	v_mul_f32_e32 v28, 0xbf167918, v5
	s_delay_alu instid0(VALU_DEP_3) | instskip(SKIP_1) | instid1(VALU_DEP_4)
	v_fmac_f32_e32 v2, 0xbf167918, v16
	v_add_f32_e32 v16, v3, v15
	v_fma_f32 v4, -0.5, v4, v3
	v_dual_fmac_f32 v3, -0.5, v9 :: v_dual_sub_f32 v14, v15, v19
	v_sub_f32_e32 v15, v19, v15
	s_delay_alu instid0(VALU_DEP_4)
	v_add_f32_e32 v9, v16, v19
	v_sub_f32_e32 v18, v11, v7
	v_dual_fmac_f32 v2, 0x3e9e377a, v17 :: v_dual_sub_f32 v19, v7, v11
	v_fmamk_f32 v16, v6, 0xbf737871, v4
	v_fmamk_f32 v17, v10, 0x3f737871, v3
	v_fmac_f32_e32 v3, 0xbf737871, v10
	s_delay_alu instid0(VALU_DEP_4) | instskip(NEXT) | instid1(VALU_DEP_4)
	v_dual_fmac_f32 v4, 0x3f737871, v6 :: v_dual_add_f32 v27, v14, v19
	v_fmac_f32_e32 v16, 0xbf167918, v10
	s_delay_alu instid0(VALU_DEP_4) | instskip(SKIP_2) | instid1(VALU_DEP_4)
	v_fmac_f32_e32 v17, 0xbf167918, v6
	v_add_f32_e32 v15, v15, v18
	v_dual_fmac_f32 v3, 0x3f167918, v6 :: v_dual_add_f32 v6, v9, v11
	v_dual_fmac_f32 v16, 0x3e9e377a, v27 :: v_dual_mul_f32 v9, 0x3e9e377a, v2
	s_delay_alu instid0(VALU_DEP_3) | instskip(NEXT) | instid1(VALU_DEP_3)
	v_fmac_f32_e32 v17, 0x3e9e377a, v15
	v_fmac_f32_e32 v3, 0x3e9e377a, v15
	s_delay_alu instid0(VALU_DEP_3) | instskip(SKIP_1) | instid1(VALU_DEP_4)
	v_dual_add_f32 v19, v6, v7 :: v_dual_fmac_f32 v28, 0x3f4f1bbd, v16
	v_fmac_f32_e32 v4, 0x3f167918, v10
	v_mul_f32_e32 v18, 0x3f737871, v17
	s_delay_alu instid0(VALU_DEP_1) | instskip(SKIP_1) | instid1(VALU_DEP_1)
	v_fmac_f32_e32 v18, 0x3e9e377a, v29
	v_mul_f32_e32 v29, 0xbf737871, v29
	v_fmac_f32_e32 v29, 0x3e9e377a, v17
	v_sub_f32_e32 v17, v25, v19
	v_fmac_f32_e32 v4, 0x3e9e377a, v27
	s_delay_alu instid0(VALU_DEP_1) | instskip(NEXT) | instid1(VALU_DEP_1)
	v_dual_mul_f32 v14, 0x3f4f1bbd, v5 :: v_dual_mul_f32 v7, 0x3f4f1bbd, v4
	v_fmac_f32_e32 v14, 0x3f167918, v16
	v_sub_f32_e32 v16, v22, v13
	v_fma_f32 v27, 0x3f737871, v3, -v9
	v_mul_f32_e32 v5, 0x3e9e377a, v3
	v_fma_f32 v15, 0xbf167918, v8, -v7
	v_mul_f32_e32 v6, 0x3f4f1bbd, v8
	v_mul_lo_u16 v7, v129, 10
	v_sub_f32_e32 v8, v0, v27
	s_delay_alu instid0(VALU_DEP_4) | instskip(NEXT) | instid1(VALU_DEP_3)
	v_sub_f32_e32 v11, v24, v15
	v_and_b32_e32 v51, 0xffff, v7
	v_sub_f32_e32 v7, v26, v29
	v_fma_f32 v3, 0x3f167918, v4, -v6
	v_sub_f32_e32 v6, v23, v18
	v_fma_f32 v2, 0xbf737871, v2, -v5
	v_sub_f32_e32 v5, v12, v28
	v_lshl_add_u32 v140, v51, 3, v131
	v_sub_f32_e32 v10, v20, v3
	ds_store_b128 v140, v[30:33]
	ds_store_b128 v140, v[34:37] offset:16
	ds_store_b128 v140, v[38:41] offset:32
	ds_store_b128 v140, v[43:46] offset:48
	ds_store_b128 v140, v[47:50] offset:64
	v_sub_f32_e32 v9, v1, v2
	v_sub_f32_e32 v4, v21, v14
	s_and_saveexec_b32 s0, vcc_lo
	s_cbranch_execz .LBB0_7
; %bb.6:
	v_dual_add_f32 v15, v24, v15 :: v_dual_add_f32 v34, v21, v14
	v_dual_add_f32 v31, v1, v2 :: v_dual_add_f32 v30, v0, v27
	;; [unrolled: 1-line block ×3, first 2 shown]
	v_add_f32_e32 v33, v25, v19
	v_lshl_add_u32 v0, v133, 3, v131
	v_dual_add_f32 v29, v26, v29 :: v_dual_add_f32 v28, v23, v18
	v_add_f32_e32 v14, v20, v3
	ds_store_b128 v0, v[32:35]
	ds_store_b128 v0, v[28:31] offset:16
	ds_store_b128 v0, v[14:17] offset:32
	;; [unrolled: 1-line block ×4, first 2 shown]
.LBB0_7:
	s_wait_alu 0xfffe
	s_or_b32 exec_lo, exec_lo, s0
	v_and_b32_e32 v0, 0xff, v54
	global_wb scope:SCOPE_SE
	s_wait_dscnt 0x0
	s_barrier_signal -1
	s_barrier_wait -1
	global_inv scope:SCOPE_SE
	v_mul_lo_u16 v0, 0xcd, v0
	v_add_co_u32 v55, null, v129, 60
	v_add_co_u32 v57, null, 0x5a, v129
	s_delay_alu instid0(VALU_DEP_3) | instskip(SKIP_2) | instid1(VALU_DEP_3)
	v_lshrrev_b16 v53, 11, v0
	v_add_co_u32 v56, null, 0x78, v129
	v_add_co_u32 v67, s0, 0xffffffec, v129
	v_mul_lo_u16 v0, v53, 10
	s_wait_alu 0xf1ff
	v_add_co_ci_u32_e64 v68, null, 0, -1, s0
	v_cmp_gt_u16_e64 s0, 20, v129
	s_delay_alu instid0(VALU_DEP_3) | instskip(SKIP_1) | instid1(VALU_DEP_2)
	v_sub_nc_u16 v0, v54, v0
	s_wait_alu 0xf1ff
	v_cndmask_b32_e64 v72, v68, v42, s0
	v_cndmask_b32_e64 v71, v67, v54, s0
	s_delay_alu instid0(VALU_DEP_3) | instskip(SKIP_1) | instid1(VALU_DEP_3)
	v_and_b32_e32 v76, 0xff, v0
	v_lshlrev_b32_e32 v54, 4, v54
	v_lshlrev_b64_e32 v[72:73], 4, v[71:72]
	s_delay_alu instid0(VALU_DEP_3)
	v_lshlrev_b32_e32 v2, 5, v76
	s_clause 0x1
	global_load_b128 v[22:25], v2, s[2:3]
	global_load_b128 v[12:15], v2, s[2:3] offset:16
	v_and_b32_e32 v1, 0xff, v129
	v_add_co_u32 v72, s0, s2, v72
	s_wait_alu 0xf1ff
	v_add_co_ci_u32_e64 v73, s0, s3, v73, s0
	s_delay_alu instid0(VALU_DEP_3) | instskip(SKIP_1) | instid1(VALU_DEP_2)
	v_mul_lo_u16 v1, 0xcd, v1
	v_cmp_lt_u16_e64 s0, 19, v129
	v_lshrrev_b16 v74, 11, v1
	s_delay_alu instid0(VALU_DEP_1) | instskip(NEXT) | instid1(VALU_DEP_1)
	v_mul_lo_u16 v1, v74, 10
	v_sub_nc_u16 v75, v129, v1
	v_and_b32_e32 v1, 0xff, v55
	s_delay_alu instid0(VALU_DEP_2) | instskip(NEXT) | instid1(VALU_DEP_2)
	v_lshlrev_b16 v0, 2, v75
	v_mul_lo_u16 v1, 0xcd, v1
	v_mad_u16 v74, v74, 50, v75
	s_delay_alu instid0(VALU_DEP_3) | instskip(NEXT) | instid1(VALU_DEP_3)
	v_and_b32_e32 v0, 0xfc, v0
	v_lshrrev_b16 v77, 11, v1
	s_delay_alu instid0(VALU_DEP_2) | instskip(NEXT) | instid1(VALU_DEP_2)
	v_lshlrev_b32_e32 v0, 3, v0
	v_mul_lo_u16 v1, v77, 10
	s_clause 0x1
	global_load_b128 v[30:33], v0, s[2:3]
	global_load_b128 v[26:29], v0, s[2:3] offset:16
	v_sub_nc_u16 v1, v55, v1
	v_add_nc_u32_e32 v78, 0x400, v130
	v_lshlrev_b32_e32 v55, 4, v55
	s_delay_alu instid0(VALU_DEP_3) | instskip(NEXT) | instid1(VALU_DEP_1)
	v_and_b32_e32 v79, 0xff, v1
	v_lshlrev_b32_e32 v0, 5, v79
	s_clause 0x1
	global_load_b128 v[18:21], v0, s[2:3]
	global_load_b128 v[0:3], v0, s[2:3] offset:16
	ds_load_2addr_b64 v[38:41], v130 offset1:30
	ds_load_2addr_b64 v[34:37], v130 offset0:60 offset1:90
	ds_load_2addr_b64 v[43:46], v130 offset0:180 offset1:210
	;; [unrolled: 1-line block ×3, first 2 shown]
	ds_load_b64 v[51:52], v130 offset:3360
	v_add_nc_u32_e32 v90, 0x800, v130
	ds_load_2addr_b64 v[59:62], v78 offset0:112 offset1:142
	v_and_b32_e32 v69, 0xff, v57
	v_and_b32_e32 v53, 0xffff, v53
	;; [unrolled: 1-line block ×3, first 2 shown]
	ds_load_2addr_b64 v[63:66], v90 offset0:104 offset1:134
	v_and_b32_e32 v74, 0xff, v74
	s_delay_alu instid0(VALU_DEP_1) | instskip(SKIP_4) | instid1(VALU_DEP_3)
	v_lshl_add_u32 v136, v74, 3, v131
	s_wait_loadcnt_dscnt 0x400
	v_dual_mul_f32 v74, v46, v25 :: v_dual_mul_f32 v83, v65, v15
	v_and_b32_e32 v70, 0xff, v56
	v_mul_f32_e32 v82, v66, v15
	v_fmac_f32_e32 v83, v66, v14
	s_delay_alu instid0(VALU_DEP_3) | instskip(NEXT) | instid1(VALU_DEP_3)
	v_mul_lo_u16 v80, v70, 41
	v_fma_f32 v65, v65, v14, -v82
	s_wait_loadcnt 0x3
	v_mul_f32_e32 v84, v37, v31
	v_mul_lo_u16 v42, v69, 41
	s_wait_loadcnt 0x2
	v_mul_f32_e32 v88, v62, v27
	v_mul_u32_u24_e32 v53, 50, v53
	v_mul_f32_e32 v85, v36, v31
	v_mul_f32_e32 v87, v43, v33
	v_lshrrev_b16 v81, 11, v42
	v_lshrrev_b16 v42, 11, v80
	v_add_nc_u32_e32 v53, v53, v76
	v_mul_u32_u24_e32 v76, 50, v77
	v_fmac_f32_e32 v85, v37, v30
	v_mul_f32_e32 v89, v61, v27
	v_mul_lo_u16 v77, v42, 50
	v_lshl_add_u32 v135, v53, 3, v131
	v_add_nc_u32_e32 v42, v76, v79
	v_dual_mul_f32 v53, v47, v23 :: v_dual_mul_f32 v76, v45, v25
	v_dual_mul_f32 v86, v44, v33 :: v_dual_fmac_f32 v89, v62, v26
	s_delay_alu instid0(VALU_DEP_3)
	v_lshl_add_u32 v134, v42, 3, v131
	v_mul_f32_e32 v42, v48, v23
	v_mul_f32_e32 v91, v64, v29
	v_fma_f32 v45, v45, v24, -v74
	v_fmac_f32_e32 v76, v46, v24
	v_dual_mul_f32 v92, v63, v29 :: v_dual_fmac_f32 v87, v44, v32
	v_fma_f32 v42, v47, v22, -v42
	s_wait_loadcnt 0x1
	v_mul_f32_e32 v47, v50, v19
	ds_load_2addr_b64 v[67:70], v90 offset0:44 offset1:74
	v_dual_fmac_f32 v53, v48, v22 :: v_dual_lshlrev_b32 v58, 4, v129
	s_wait_loadcnt 0x0
	v_mul_f32_e32 v82, v51, v3
	v_fma_f32 v36, v36, v30, -v84
	v_fma_f32 v43, v43, v32, -v86
	;; [unrolled: 1-line block ×5, first 2 shown]
	v_dual_add_f32 v37, v40, v42 :: v_dual_add_f32 v88, v53, v83
	s_delay_alu instid0(VALU_DEP_4)
	v_sub_f32_e32 v105, v43, v61
	v_add_f32_e32 v93, v38, v36
	v_add_f32_e32 v99, v36, v84
	;; [unrolled: 1-line block ×3, first 2 shown]
	v_dual_sub_f32 v97, v36, v43 :: v_dual_sub_f32 v100, v43, v36
	v_dual_sub_f32 v101, v61, v84 :: v_dual_add_f32 v102, v39, v85
	v_sub_f32_e32 v104, v36, v84
	s_wait_dscnt 0x0
	v_mul_f32_e32 v79, v68, v13
	v_dual_mul_f32 v80, v67, v13 :: v_dual_add_f32 v93, v93, v43
	v_mul_lo_u16 v75, v81, 50
	global_wb scope:SCOPE_SE
	v_fma_f32 v46, v67, v12, -v79
	v_fmac_f32_e32 v80, v68, v12
	v_mul_f32_e32 v66, v60, v21
	v_dual_mul_f32 v67, v59, v21 :: v_dual_mul_f32 v48, v49, v19
	v_dual_mul_f32 v68, v70, v1 :: v_dual_mul_f32 v79, v52, v3
	v_add_f32_e32 v47, v45, v46
	v_dual_mul_f32 v74, v69, v1 :: v_dual_sub_f32 v63, v76, v80
	v_fmac_f32_e32 v92, v64, v28
	v_dual_fmac_f32 v67, v60, v20 :: v_dual_fmac_f32 v48, v50, v18
	v_fma_f32 v62, v69, v0, -v68
	v_add_f32_e32 v69, v76, v80
	v_fmac_f32_e32 v74, v70, v0
	v_fma_f32 v68, v51, v2, -v79
	v_sub_f32_e32 v60, v53, v83
	v_dual_sub_f32 v50, v42, v45 :: v_dual_sub_f32 v91, v80, v83
	v_sub_f32_e32 v51, v65, v46
	v_fma_f32 v49, v59, v20, -v66
	v_sub_f32_e32 v59, v45, v42
	v_fmac_f32_e32 v82, v52, v2
	v_sub_f32_e32 v64, v46, v65
	v_dual_add_f32 v66, v41, v53 :: v_dual_add_f32 v141, v50, v51
	v_dual_sub_f32 v70, v42, v65 :: v_dual_sub_f32 v79, v45, v46
	v_dual_add_f32 v52, v42, v65 :: v_dual_sub_f32 v95, v85, v92
	v_sub_f32_e32 v42, v53, v76
	v_dual_sub_f32 v86, v83, v80 :: v_dual_sub_f32 v137, v92, v89
	v_sub_f32_e32 v53, v76, v53
	v_dual_add_f32 v94, v43, v61 :: v_dual_sub_f32 v139, v89, v92
	v_dual_add_f32 v138, v85, v92 :: v_dual_add_f32 v143, v67, v74
	v_sub_f32_e32 v96, v87, v89
	v_sub_f32_e32 v98, v84, v61
	v_dual_sub_f32 v132, v85, v87 :: v_dual_sub_f32 v85, v87, v85
	v_add_f32_e32 v45, v37, v45
	v_fma_f32 v36, -0.5, v47, v40
	v_fma_f32 v40, -0.5, v52, v40
	v_dual_add_f32 v142, v59, v64 :: v_dual_add_f32 v51, v49, v62
	v_add_f32_e32 v47, v66, v76
	v_fma_f32 v37, -0.5, v69, v41
	v_add_f32_e32 v69, v42, v86
	v_dual_fmac_f32 v41, -0.5, v88 :: v_dual_add_f32 v76, v53, v91
	v_add_f32_e32 v59, v44, v68
	v_dual_add_f32 v50, v34, v44 :: v_dual_sub_f32 v145, v49, v62
	v_dual_sub_f32 v86, v48, v82 :: v_dual_add_f32 v91, v35, v48
	v_sub_f32_e32 v88, v67, v74
	v_dual_sub_f32 v52, v44, v49 :: v_dual_sub_f32 v147, v82, v74
	v_dual_sub_f32 v53, v68, v62 :: v_dual_sub_f32 v64, v49, v44
	v_dual_sub_f32 v66, v62, v68 :: v_dual_add_f32 v85, v85, v139
	v_add_f32_e32 v148, v48, v82
	v_fma_f32 v42, -0.5, v94, v38
	v_fma_f32 v38, -0.5, v99, v38
	;; [unrolled: 1-line block ×4, first 2 shown]
	v_dual_sub_f32 v144, v44, v68 :: v_dual_add_f32 v87, v102, v87
	v_dual_sub_f32 v146, v48, v67 :: v_dual_sub_f32 v149, v67, v48
	v_sub_f32_e32 v150, v74, v82
	v_dual_add_f32 v94, v97, v98 :: v_dual_add_f32 v97, v100, v101
	v_dual_add_f32 v98, v132, v137 :: v_dual_add_f32 v99, v45, v46
	v_fmamk_f32 v44, v60, 0x3f737871, v36
	v_dual_fmac_f32 v36, 0xbf737871, v60 :: v_dual_add_f32 v101, v52, v53
	v_fmamk_f32 v46, v63, 0xbf737871, v40
	v_dual_add_f32 v80, v47, v80 :: v_dual_fmamk_f32 v45, v70, 0xbf737871, v37
	v_dual_fmac_f32 v40, 0x3f737871, v63 :: v_dual_fmamk_f32 v47, v79, 0x3f737871, v41
	v_dual_fmac_f32 v41, 0xbf737871, v79 :: v_dual_add_f32 v100, v50, v49
	v_fma_f32 v48, -0.5, v51, v34
	v_fmamk_f32 v51, v104, 0xbf737871, v43
	v_fma_f32 v34, -0.5, v59, v34
	v_add_f32_e32 v102, v64, v66
	v_dual_add_f32 v64, v91, v67 :: v_dual_fmac_f32 v43, 0x3f737871, v104
	v_fma_f32 v49, -0.5, v143, v35
	v_dual_fmac_f32 v35, -0.5, v148 :: v_dual_fmamk_f32 v50, v95, 0x3f737871, v42
	v_fmamk_f32 v53, v105, 0x3f737871, v39
	v_dual_fmamk_f32 v52, v96, 0xbf737871, v38 :: v_dual_add_f32 v59, v99, v65
	v_dual_fmac_f32 v42, 0xbf737871, v95 :: v_dual_fmac_f32 v39, 0xbf737871, v105
	v_dual_fmac_f32 v38, 0x3f737871, v96 :: v_dual_fmac_f32 v37, 0x3f737871, v70
	v_add_f32_e32 v91, v146, v147
	v_add_f32_e32 v103, v149, v150
	v_dual_add_f32 v66, v93, v61 :: v_dual_fmac_f32 v45, 0xbf167918, v79
	v_dual_add_f32 v67, v87, v89 :: v_dual_fmac_f32 v44, 0x3f167918, v63
	v_fmac_f32_e32 v41, 0x3f167918, v70
	v_dual_fmac_f32 v36, 0xbf167918, v63 :: v_dual_fmac_f32 v47, 0xbf167918, v70
	v_dual_fmac_f32 v46, 0x3f167918, v60 :: v_dual_fmac_f32 v37, 0x3f167918, v79
	;; [unrolled: 1-line block ×3, first 2 shown]
	v_dual_add_f32 v60, v80, v83 :: v_dual_fmamk_f32 v61, v86, 0x3f737871, v48
	v_add_f32_e32 v70, v100, v62
	v_fmac_f32_e32 v48, 0xbf737871, v86
	v_fmamk_f32 v63, v88, 0xbf737871, v34
	v_fmac_f32_e32 v34, 0x3f737871, v88
	v_dual_add_f32 v74, v64, v74 :: v_dual_add_f32 v65, v66, v84
	v_fmamk_f32 v62, v144, 0xbf737871, v49
	v_fmac_f32_e32 v49, 0x3f737871, v144
	v_fmamk_f32 v64, v145, 0x3f737871, v35
	v_fmac_f32_e32 v35, 0xbf737871, v145
	v_dual_fmac_f32 v50, 0x3f167918, v96 :: v_dual_fmac_f32 v43, 0x3f167918, v105
	v_dual_fmac_f32 v52, 0x3f167918, v95 :: v_dual_fmac_f32 v39, 0x3f167918, v104
	v_fmac_f32_e32 v42, 0xbf167918, v96
	v_dual_fmac_f32 v38, 0xbf167918, v95 :: v_dual_fmac_f32 v53, 0xbf167918, v104
	v_add_f32_e32 v66, v67, v92
	v_add_f32_e32 v67, v70, v68
	v_dual_fmac_f32 v61, 0x3f167918, v88 :: v_dual_add_f32 v68, v74, v82
	v_fmac_f32_e32 v48, 0xbf167918, v88
	v_fmac_f32_e32 v63, 0x3f167918, v86
	;; [unrolled: 1-line block ×7, first 2 shown]
	v_dual_fmac_f32 v50, 0x3e9e377a, v94 :: v_dual_fmac_f32 v53, 0x3e9e377a, v85
	v_dual_fmac_f32 v52, 0x3e9e377a, v97 :: v_dual_fmac_f32 v51, 0x3e9e377a, v98
	;; [unrolled: 1-line block ×8, first 2 shown]
	s_barrier_signal -1
	s_barrier_wait -1
	global_inv scope:SCOPE_SE
	v_dual_fmac_f32 v61, 0x3e9e377a, v101 :: v_dual_fmac_f32 v34, 0x3e9e377a, v102
	v_dual_fmac_f32 v48, 0x3e9e377a, v101 :: v_dual_fmac_f32 v63, 0x3e9e377a, v102
	v_fmac_f32_e32 v62, 0x3e9e377a, v91
	v_fmac_f32_e32 v49, 0x3e9e377a, v91
	;; [unrolled: 1-line block ×4, first 2 shown]
	ds_store_2addr_b64 v136, v[65:66], v[50:51] offset1:10
	ds_store_2addr_b64 v136, v[52:53], v[38:39] offset0:20 offset1:30
	ds_store_b64 v136, v[42:43] offset:320
	ds_store_2addr_b64 v135, v[59:60], v[44:45] offset1:10
	ds_store_2addr_b64 v135, v[46:47], v[40:41] offset0:20 offset1:30
	ds_store_b64 v135, v[36:37] offset:320
	;; [unrolled: 3-line block ×3, first 2 shown]
	global_wb scope:SCOPE_SE
	s_wait_dscnt 0x0
	s_barrier_signal -1
	s_barrier_wait -1
	global_inv scope:SCOPE_SE
	s_clause 0x1
	global_load_b128 v[50:53], v58, s[2:3] offset:320
	global_load_b128 v[42:45], v58, s[2:3] offset:480
	v_sub_nc_u16 v75, v57, v75
	v_sub_nc_u16 v34, v56, v77
	global_load_b128 v[46:49], v[72:73], off offset:320
	v_and_b32_e32 v59, 0xffff, v81
	s_wait_alu 0xf1ff
	v_cndmask_b32_e64 v63, 0, 0x96, s0
	v_and_b32_e32 v67, 0xff, v75
	v_and_b32_e32 v72, 0xff, v34
	s_add_nc_u64 s[0:1], s[12:13], 0xe10
	v_mul_u32_u24_e32 v68, 0x96, v59
	v_add_nc_u32_e32 v71, v71, v63
	v_lshlrev_b32_e32 v34, 4, v67
	v_lshlrev_b32_e32 v35, 4, v72
	s_clause 0x1
	global_load_b128 v[38:41], v34, s[2:3] offset:320
	global_load_b128 v[34:37], v35, s[2:3] offset:320
	v_add_nc_u32_e32 v73, v68, v67
	ds_load_2addr_b64 v[67:70], v130 offset0:180 offset1:210
	ds_load_2addr_b64 v[59:62], v130 offset0:120 offset1:150
	;; [unrolled: 1-line block ×3, first 2 shown]
	v_lshl_add_u32 v139, v71, 3, v131
	v_lshl_add_u32 v138, v73, 3, v131
	s_wait_loadcnt_dscnt 0x401
	v_mul_f32_e32 v88, v61, v51
	s_wait_loadcnt 0x3
	v_mul_f32_e32 v101, v69, v43
	v_lshl_add_u32 v137, v72, 3, v131
	ds_load_2addr_b64 v[71:74], v90 offset0:104 offset1:134
	ds_load_2addr_b64 v[79:82], v78 offset0:112 offset1:142
	ds_load_2addr_b64 v[83:86], v130 offset1:30
	ds_load_2addr_b64 v[91:94], v130 offset0:60 offset1:90
	ds_load_b64 v[75:76], v130 offset:3360
	s_wait_dscnt 0x5
	v_mul_f32_e32 v89, v64, v53
	s_wait_loadcnt 0x2
	v_mul_f32_e32 v96, v68, v47
	v_dual_mul_f32 v97, v67, v47 :: v_dual_mul_f32 v98, v66, v49
	v_dual_mul_f32 v100, v70, v43 :: v_dual_add_nc_u32 v77, 0x800, v137
	v_mul_f32_e32 v87, v62, v51
	v_mul_f32_e32 v95, v63, v53
	v_dual_mul_f32 v99, v65, v49 :: v_dual_fmac_f32 v88, v62, v50
	v_fma_f32 v62, v63, v52, -v89
	v_fma_f32 v63, v67, v46, -v96
	;; [unrolled: 1-line block ×3, first 2 shown]
	v_fmac_f32_e32 v97, v68, v46
	v_fma_f32 v61, v61, v50, -v87
	v_fmac_f32_e32 v95, v64, v52
	s_wait_loadcnt_dscnt 0x103
	v_mul_f32_e32 v104, v80, v39
	v_dual_mul_f32 v105, v79, v39 :: v_dual_mul_f32 v102, v72, v45
	s_wait_loadcnt_dscnt 0x0
	v_mul_f32_e32 v144, v76, v37
	v_mul_f32_e32 v103, v71, v45
	;; [unrolled: 1-line block ×3, first 2 shown]
	v_dual_mul_f32 v141, v73, v41 :: v_dual_mul_f32 v142, v82, v35
	v_mul_f32_e32 v143, v81, v35
	v_mul_f32_e32 v145, v75, v37
	v_fmac_f32_e32 v99, v66, v48
	v_fma_f32 v64, v69, v42, -v100
	v_fmac_f32_e32 v101, v70, v42
	v_fma_f32 v67, v71, v44, -v102
	v_fma_f32 v66, v79, v38, -v104
	v_fmac_f32_e32 v105, v80, v38
	v_fma_f32 v71, v73, v40, -v132
	v_dual_fmac_f32 v141, v74, v40 :: v_dual_add_f32 v74, v88, v95
	v_fma_f32 v68, v81, v34, -v142
	v_fmac_f32_e32 v143, v82, v34
	v_fma_f32 v73, v75, v36, -v144
	v_dual_add_f32 v80, v63, v65 :: v_dual_fmac_f32 v103, v72, v44
	v_dual_add_f32 v82, v86, v97 :: v_dual_fmac_f32 v145, v76, v36
	v_dual_add_f32 v69, v83, v61 :: v_dual_add_f32 v96, v64, v67
	v_add_f32_e32 v70, v61, v62
	v_sub_f32_e32 v76, v88, v95
	v_dual_add_f32 v72, v84, v88 :: v_dual_sub_f32 v79, v61, v62
	v_dual_add_f32 v98, v92, v101 :: v_dual_sub_f32 v81, v97, v99
	v_add_f32_e32 v146, v59, v68
	v_dual_sub_f32 v88, v63, v65 :: v_dual_add_f32 v75, v85, v63
	v_dual_add_f32 v142, v94, v105 :: v_dual_add_f32 v89, v91, v64
	v_add_f32_e32 v102, v93, v66
	v_add_f32_e32 v100, v101, v103
	v_dual_add_f32 v87, v97, v99 :: v_dual_sub_f32 v148, v143, v145
	v_dual_sub_f32 v97, v101, v103 :: v_dual_sub_f32 v150, v68, v73
	v_dual_sub_f32 v101, v64, v67 :: v_dual_sub_f32 v132, v105, v141
	v_dual_add_f32 v104, v66, v71 :: v_dual_add_f32 v105, v105, v141
	v_dual_sub_f32 v144, v66, v71 :: v_dual_add_f32 v147, v68, v73
	v_add_f32_e32 v149, v60, v143
	v_add_f32_e32 v143, v143, v145
	v_dual_add_f32 v61, v69, v62 :: v_dual_add_f32 v66, v82, v99
	v_fma_f32 v63, -0.5, v70, v83
	v_add_f32_e32 v62, v72, v95
	v_fma_f32 v64, -0.5, v74, v84
	v_dual_add_f32 v65, v75, v65 :: v_dual_fmac_f32 v86, -0.5, v87
	v_fma_f32 v85, -0.5, v80, v85
	v_dual_add_f32 v67, v89, v67 :: v_dual_fmac_f32 v94, -0.5, v105
	v_fma_f32 v69, -0.5, v96, v91
	v_fma_f32 v70, -0.5, v100, v92
	;; [unrolled: 1-line block ×3, first 2 shown]
	v_dual_add_f32 v73, v146, v73 :: v_dual_fmac_f32 v60, -0.5, v143
	v_fma_f32 v59, -0.5, v147, v59
	v_dual_add_f32 v68, v98, v103 :: v_dual_fmamk_f32 v75, v76, 0x3f5db3d7, v63
	v_dual_fmac_f32 v63, 0xbf5db3d7, v76 :: v_dual_fmamk_f32 v76, v79, 0xbf5db3d7, v64
	v_dual_fmac_f32 v64, 0x3f5db3d7, v79 :: v_dual_fmamk_f32 v79, v81, 0x3f5db3d7, v85
	;; [unrolled: 1-line block ×9, first 2 shown]
	v_fmac_f32_e32 v60, 0x3f5db3d7, v150
	v_add_f32_e32 v72, v142, v141
	v_dual_add_f32 v71, v102, v71 :: v_dual_add_f32 v74, v149, v145
	global_wb scope:SCOPE_SE
	s_barrier_signal -1
	s_barrier_wait -1
	global_inv scope:SCOPE_SE
	ds_store_2addr_b64 v130, v[61:62], v[75:76] offset1:50
	ds_store_b64 v130, v[63:64] offset:800
	ds_store_2addr_b64 v139, v[65:66], v[79:80] offset1:50
	ds_store_b64 v139, v[85:86] offset:800
	ds_store_2addr_b64 v130, v[67:68], v[81:82] offset0:160 offset1:210
	ds_store_b64 v130, v[69:70] offset:2080
	ds_store_2addr_b64 v138, v[71:72], v[83:84] offset1:50
	ds_store_b64 v138, v[93:94] offset:800
	ds_store_2addr_b64 v77, v[73:74], v[87:88] offset0:44 offset1:94
	ds_store_b64 v137, v[59:60] offset:3200
	global_wb scope:SCOPE_SE
	s_wait_dscnt 0x0
	s_barrier_signal -1
	s_barrier_wait -1
	global_inv scope:SCOPE_SE
	s_clause 0x2
	global_load_b128 v[70:73], v58, s[2:3] offset:1120
	global_load_b128 v[66:69], v54, s[2:3] offset:1120
	;; [unrolled: 1-line block ×3, first 2 shown]
	v_lshlrev_b32_e32 v54, 4, v57
	v_lshlrev_b32_e32 v55, 4, v56
	s_clause 0x1
	global_load_b128 v[58:61], v54, s[2:3] offset:1120
	global_load_b128 v[54:57], v55, s[2:3] offset:1120
	ds_load_2addr_b64 v[74:77], v130 offset0:120 offset1:150
	ds_load_2addr_b64 v[82:85], v90 offset0:44 offset1:74
	;; [unrolled: 1-line block ×5, first 2 shown]
	ds_load_2addr_b64 v[141:144], v130 offset1:30
	ds_load_b64 v[88:89], v130 offset:3360
	ds_load_2addr_b64 v[78:81], v130 offset0:60 offset1:90
	v_lshl_add_u32 v132, v129, 3, v131
	v_lshlrev_b32_e32 v87, 3, v129
	s_wait_loadcnt_dscnt 0x406
	s_delay_alu instid0(VALU_DEP_2)
	v_dual_mul_f32 v105, v83, v73 :: v_dual_add_nc_u32 v86, 0x800, v132
	v_mul_f32_e32 v103, v77, v71
	v_dual_mul_f32 v104, v76, v71 :: v_dual_mul_f32 v145, v82, v73
	s_wait_loadcnt_dscnt 0x305
	v_mul_f32_e32 v146, v92, v67
	v_dual_mul_f32 v147, v91, v67 :: v_dual_mul_f32 v148, v85, v69
	s_wait_loadcnt 0x2
	v_dual_mul_f32 v149, v84, v69 :: v_dual_mul_f32 v150, v94, v63
	s_wait_dscnt 0x4
	v_dual_mul_f32 v151, v93, v63 :: v_dual_mul_f32 v152, v96, v65
	s_wait_loadcnt_dscnt 0x3
	v_dual_mul_f32 v153, v95, v65 :: v_dual_mul_f32 v158, v102, v55
	v_mul_f32_e32 v154, v100, v59
	v_dual_mul_f32 v155, v99, v59 :: v_dual_mul_f32 v156, v98, v61
	s_wait_dscnt 0x1
	v_dual_mul_f32 v160, v89, v57 :: v_dual_fmac_f32 v145, v83, v72
	v_dual_mul_f32 v161, v88, v57 :: v_dual_fmac_f32 v104, v77, v70
	v_mul_f32_e32 v159, v101, v55
	v_fma_f32 v76, v76, v70, -v103
	v_fma_f32 v77, v82, v72, -v105
	;; [unrolled: 1-line block ×3, first 2 shown]
	v_fmac_f32_e32 v147, v92, v66
	v_fma_f32 v83, v84, v68, -v148
	v_fmac_f32_e32 v149, v85, v68
	v_fma_f32 v84, v93, v62, -v150
	v_mul_f32_e32 v157, v97, v61
	v_fma_f32 v85, v95, v64, -v152
	v_fmac_f32_e32 v153, v96, v64
	v_fma_f32 v91, v99, v58, -v154
	v_fmac_f32_e32 v155, v100, v58
	v_fma_f32 v92, v101, v54, -v158
	v_fma_f32 v99, v88, v56, -v160
	v_dual_add_f32 v88, v141, v76 :: v_dual_fmac_f32 v151, v94, v62
	v_dual_sub_f32 v100, v104, v145 :: v_dual_add_f32 v93, v142, v104
	v_dual_add_f32 v94, v104, v145 :: v_dual_add_f32 v95, v143, v82
	s_wait_dscnt 0x0
	v_add_f32_e32 v150, v80, v91
	v_add_f32_e32 v96, v82, v83
	v_sub_f32_e32 v104, v82, v83
	v_dual_fmac_f32 v159, v102, v54 :: v_dual_sub_f32 v102, v147, v149
	v_dual_sub_f32 v146, v151, v153 :: v_dual_fmac_f32 v161, v89, v56
	v_add_f32_e32 v148, v151, v153
	v_dual_add_f32 v82, v78, v84 :: v_dual_add_f32 v89, v76, v77
	v_add_f32_e32 v154, v81, v155
	v_fma_f32 v97, v97, v60, -v156
	v_dual_fmac_f32 v157, v98, v60 :: v_dual_add_f32 v98, v144, v147
	v_dual_add_f32 v103, v147, v149 :: v_dual_add_f32 v160, v92, v99
	v_dual_sub_f32 v101, v76, v77 :: v_dual_add_f32 v158, v74, v92
	s_delay_alu instid0(VALU_DEP_2)
	v_dual_add_f32 v105, v84, v85 :: v_dual_fmac_f32 v144, -0.5, v103
	v_dual_add_f32 v147, v79, v151 :: v_dual_add_f32 v76, v88, v77
	v_fma_f32 v88, -0.5, v89, v141
	v_dual_add_f32 v151, v91, v97 :: v_dual_sub_f32 v164, v92, v99
	v_sub_f32_e32 v152, v155, v157
	v_add_f32_e32 v155, v155, v157
	v_sub_f32_e32 v162, v159, v161
	v_dual_add_f32 v163, v75, v159 :: v_dual_add_f32 v92, v98, v149
	v_add_f32_e32 v159, v159, v161
	v_fma_f32 v89, -0.5, v94, v142
	v_fma_f32 v143, -0.5, v96, v143
	v_sub_f32_e32 v84, v84, v85
	v_add_f32_e32 v77, v93, v145
	v_add_f32_e32 v93, v82, v85
	v_fma_f32 v96, -0.5, v148, v79
	v_dual_add_f32 v82, v158, v99 :: v_dual_fmamk_f32 v99, v100, 0x3f5db3d7, v88
	v_fmac_f32_e32 v88, 0xbf5db3d7, v100
	v_fmamk_f32 v100, v101, 0xbf5db3d7, v89
	v_dual_sub_f32 v156, v91, v97 :: v_dual_fmac_f32 v75, -0.5, v159
	v_dual_add_f32 v91, v95, v83 :: v_dual_add_f32 v98, v154, v157
	v_fma_f32 v95, -0.5, v105, v78
	v_add_f32_e32 v94, v147, v153
	v_fma_f32 v80, -0.5, v151, v80
	v_fmac_f32_e32 v81, -0.5, v155
	v_fma_f32 v74, -0.5, v160, v74
	v_fmac_f32_e32 v89, 0x3f5db3d7, v101
	v_fmamk_f32 v101, v102, 0x3f5db3d7, v143
	v_dual_fmac_f32 v143, 0xbf5db3d7, v102 :: v_dual_fmamk_f32 v102, v104, 0xbf5db3d7, v144
	v_dual_add_f32 v97, v150, v97 :: v_dual_fmac_f32 v144, 0x3f5db3d7, v104
	v_dual_add_f32 v83, v163, v161 :: v_dual_fmamk_f32 v104, v84, 0xbf5db3d7, v96
	v_dual_fmamk_f32 v103, v146, 0x3f5db3d7, v95 :: v_dual_fmamk_f32 v78, v152, 0x3f5db3d7, v80
	v_fmac_f32_e32 v95, 0xbf5db3d7, v146
	v_fmac_f32_e32 v96, 0x3f5db3d7, v84
	v_dual_fmac_f32 v80, 0xbf5db3d7, v152 :: v_dual_fmamk_f32 v79, v156, 0xbf5db3d7, v81
	v_dual_fmac_f32 v81, 0x3f5db3d7, v156 :: v_dual_fmamk_f32 v84, v162, 0x3f5db3d7, v74
	;; [unrolled: 1-line block ×3, first 2 shown]
	v_fmac_f32_e32 v75, 0x3f5db3d7, v164
	ds_store_2addr_b64 v132, v[91:92], v[93:94] offset0:30 offset1:60
	ds_store_2addr_b64 v132, v[99:100], v[101:102] offset0:150 offset1:180
	;; [unrolled: 1-line block ×3, first 2 shown]
	ds_store_b64 v132, v[103:104] offset:1680
	ds_store_b64 v132, v[95:96] offset:2880
	ds_store_2addr_b64 v130, v[76:77], v[97:98] offset1:90
	ds_store_b64 v132, v[80:81] offset:3120
	ds_store_b64 v132, v[78:79] offset:1920
	;; [unrolled: 1-line block ×3, first 2 shown]
	ds_store_2addr_b64 v90, v[84:85], v[74:75] offset0:14 offset1:164
	global_wb scope:SCOPE_SE
	s_wait_dscnt 0x0
	s_barrier_signal -1
	s_barrier_wait -1
	global_inv scope:SCOPE_SE
	s_clause 0x9
	global_load_b64 v[76:77], v[106:107], off offset:3600
	global_load_b64 v[88:89], v87, s[0:1] offset:360
	global_load_b64 v[103:104], v87, s[0:1] offset:720
	;; [unrolled: 1-line block ×9, first 2 shown]
	ds_load_2addr_b64 v[91:94], v130 offset1:45
	ds_load_2addr_b64 v[95:98], v130 offset0:90 offset1:135
	ds_load_2addr_b64 v[99:102], v130 offset0:180 offset1:225
	ds_load_2addr_b64 v[141:144], v90 offset0:14 offset1:59
	ds_load_2addr_b64 v[145:148], v90 offset0:104 offset1:149
	s_wait_loadcnt_dscnt 0x904
	v_mul_f32_e32 v164, v92, v77
	s_wait_loadcnt_dscnt 0x703
	v_dual_mul_f32 v105, v91, v77 :: v_dual_mul_f32 v166, v96, v104
	s_wait_loadcnt_dscnt 0x502
	v_dual_mul_f32 v165, v94, v89 :: v_dual_mul_f32 v168, v100, v152
	;; [unrolled: 2-line block ×3, first 2 shown]
	v_mul_f32_e32 v167, v98, v150
	s_wait_loadcnt_dscnt 0x100
	v_dual_mul_f32 v163, v97, v150 :: v_dual_mul_f32 v172, v146, v160
	v_mul_f32_e32 v150, v99, v152
	v_mul_f32_e32 v89, v95, v104
	v_mul_f32_e32 v169, v102, v154
	v_mul_f32_e32 v152, v101, v154
	v_dual_mul_f32 v154, v141, v156 :: v_dual_mul_f32 v171, v144, v158
	v_dual_mul_f32 v156, v143, v158 :: v_dual_fmac_f32 v105, v92, v76
	s_wait_loadcnt 0x0
	v_dual_mul_f32 v158, v145, v160 :: v_dual_mul_f32 v173, v148, v162
	s_delay_alu instid0(VALU_DEP_3)
	v_fmac_f32_e32 v154, v142, v155
	v_dual_mul_f32 v160, v147, v162 :: v_dual_fmac_f32 v77, v94, v88
	v_fma_f32 v104, v91, v76, -v164
	v_fma_f32 v76, v93, v88, -v165
	;; [unrolled: 1-line block ×4, first 2 shown]
	v_dual_fmac_f32 v163, v98, v149 :: v_dual_fmac_f32 v150, v100, v151
	v_fmac_f32_e32 v89, v96, v103
	v_fma_f32 v149, v99, v151, -v168
	v_fma_f32 v151, v101, v153, -v169
	v_fmac_f32_e32 v152, v102, v153
	v_fma_f32 v153, v141, v155, -v170
	v_fma_f32 v155, v143, v157, -v171
	v_fmac_f32_e32 v156, v144, v157
	v_fma_f32 v157, v145, v159, -v172
	v_fmac_f32_e32 v158, v146, v159
	;; [unrolled: 2-line block ×3, first 2 shown]
	ds_store_2addr_b64 v130, v[104:105], v[76:77] offset1:45
	ds_store_2addr_b64 v130, v[88:89], v[162:163] offset0:90 offset1:135
	ds_store_2addr_b64 v130, v[149:150], v[151:152] offset0:180 offset1:225
	;; [unrolled: 1-line block ×4, first 2 shown]
	s_and_saveexec_b32 s2, vcc_lo
	s_cbranch_execz .LBB0_9
; %bb.8:
	s_wait_alu 0xfffe
	v_add_co_u32 v76, s0, s0, v87
	s_wait_alu 0xf1ff
	v_add_co_ci_u32_e64 v77, null, s1, 0, s0
	s_clause 0x9
	global_load_b64 v[87:88], v[76:77], off offset:240
	global_load_b64 v[103:104], v[76:77], off offset:600
	;; [unrolled: 1-line block ×10, first 2 shown]
	ds_load_2addr_b64 v[91:94], v132 offset0:30 offset1:75
	ds_load_2addr_b64 v[95:98], v132 offset0:120 offset1:165
	;; [unrolled: 1-line block ×5, first 2 shown]
	s_wait_loadcnt_dscnt 0x904
	v_mul_f32_e32 v164, v92, v88
	v_mul_f32_e32 v89, v91, v88
	s_wait_loadcnt_dscnt 0x703
	v_dual_mul_f32 v166, v94, v104 :: v_dual_mul_f32 v167, v96, v150
	v_mul_f32_e32 v105, v93, v104
	s_wait_loadcnt 0x6
	v_dual_mul_f32 v163, v95, v150 :: v_dual_mul_f32 v168, v98, v152
	s_wait_loadcnt_dscnt 0x502
	v_dual_mul_f32 v169, v100, v154 :: v_dual_mul_f32 v150, v97, v152
	s_wait_loadcnt_dscnt 0x301
	v_mul_f32_e32 v171, v142, v158
	v_mul_f32_e32 v152, v99, v154
	s_wait_loadcnt_dscnt 0x0
	v_dual_mul_f32 v170, v102, v156 :: v_dual_mul_f32 v165, v147, v77
	v_dual_mul_f32 v154, v101, v156 :: v_dual_mul_f32 v173, v146, v162
	v_mul_f32_e32 v156, v141, v158
	v_dual_mul_f32 v172, v144, v160 :: v_dual_fmac_f32 v105, v94, v103
	v_dual_mul_f32 v158, v143, v160 :: v_dual_fmac_f32 v89, v92, v87
	;; [unrolled: 1-line block ×3, first 2 shown]
	v_mul_f32_e32 v174, v148, v77
	v_fma_f32 v88, v91, v87, -v164
	v_fma_f32 v104, v93, v103, -v166
	v_fma_f32 v162, v95, v149, -v167
	v_fma_f32 v149, v97, v151, -v168
	v_dual_fmac_f32 v150, v98, v151 :: v_dual_fmac_f32 v165, v148, v76
	v_fma_f32 v151, v99, v153, -v169
	v_fmac_f32_e32 v152, v100, v153
	v_fma_f32 v153, v101, v155, -v170
	v_fmac_f32_e32 v154, v102, v155
	;; [unrolled: 2-line block ×5, first 2 shown]
	v_fma_f32 v164, v147, v76, -v174
	ds_store_2addr_b64 v132, v[88:89], v[104:105] offset0:30 offset1:75
	ds_store_2addr_b64 v132, v[162:163], v[149:150] offset0:120 offset1:165
	;; [unrolled: 1-line block ×5, first 2 shown]
.LBB0_9:
	s_wait_alu 0xfffe
	s_or_b32 exec_lo, exec_lo, s2
	global_wb scope:SCOPE_SE
	s_wait_dscnt 0x0
	s_barrier_signal -1
	s_barrier_wait -1
	global_inv scope:SCOPE_SE
	ds_load_2addr_b64 v[86:89], v130 offset1:45
	ds_load_2addr_b64 v[102:105], v130 offset0:90 offset1:135
	ds_load_2addr_b64 v[98:101], v130 offset0:180 offset1:225
	;; [unrolled: 1-line block ×4, first 2 shown]
	s_and_saveexec_b32 s0, vcc_lo
	s_cbranch_execz .LBB0_11
; %bb.10:
	ds_load_2addr_b64 v[74:77], v132 offset0:210 offset1:255
	s_wait_dscnt 0x0
	v_dual_mov_b32 v17, v77 :: v_dual_add_nc_u32 v8, 0x800, v132
	ds_load_2addr_b64 v[78:81], v132 offset0:30 offset1:75
	ds_load_2addr_b64 v[82:85], v132 offset0:120 offset1:165
	;; [unrolled: 1-line block ×4, first 2 shown]
	v_mov_b32_e32 v16, v76
.LBB0_11:
	s_wait_alu 0xfffe
	s_or_b32 exec_lo, exec_lo, s0
	s_wait_dscnt 0x0
	v_dual_add_f32 v77, v98, v94 :: v_dual_sub_f32 v142, v103, v91
	v_dual_sub_f32 v143, v99, v95 :: v_dual_add_nc_u32 v76, 0x3c0, v130
	v_sub_f32_e32 v145, v90, v94
	s_delay_alu instid0(VALU_DEP_3)
	v_fma_f32 v77, -0.5, v77, v86
	global_wb scope:SCOPE_SE
	s_barrier_signal -1
	s_barrier_wait -1
	global_inv scope:SCOPE_SE
	v_fmamk_f32 v147, v142, 0xbf737871, v77
	v_sub_f32_e32 v144, v102, v98
	v_dual_fmac_f32 v77, 0x3f737871, v142 :: v_dual_add_f32 v150, v99, v95
	s_delay_alu instid0(VALU_DEP_3) | instskip(NEXT) | instid1(VALU_DEP_3)
	v_dual_sub_f32 v148, v98, v102 :: v_dual_fmac_f32 v147, 0xbf167918, v143
	v_dual_add_f32 v141, v86, v102 :: v_dual_add_f32 v144, v144, v145
	s_delay_alu instid0(VALU_DEP_3) | instskip(NEXT) | instid1(VALU_DEP_2)
	v_dual_add_f32 v146, v102, v90 :: v_dual_fmac_f32 v77, 0x3f167918, v143
	v_fmac_f32_e32 v147, 0x3e9e377a, v144
	s_delay_alu instid0(VALU_DEP_2) | instskip(NEXT) | instid1(VALU_DEP_4)
	v_fma_f32 v145, -0.5, v146, v86
	v_add_f32_e32 v141, v141, v98
	s_delay_alu instid0(VALU_DEP_4) | instskip(NEXT) | instid1(VALU_DEP_3)
	v_dual_fmac_f32 v77, 0x3e9e377a, v144 :: v_dual_sub_f32 v144, v91, v95
	v_fmamk_f32 v146, v143, 0x3f737871, v145
	s_delay_alu instid0(VALU_DEP_3)
	v_add_f32_e32 v86, v141, v94
	v_sub_f32_e32 v141, v94, v90
	v_fmac_f32_e32 v145, 0xbf737871, v143
	v_fma_f32 v143, -0.5, v150, v87
	v_fmac_f32_e32 v146, 0xbf167918, v142
	v_dual_add_f32 v149, v86, v90 :: v_dual_add_f32 v86, v87, v103
	v_sub_f32_e32 v90, v102, v90
	v_dual_add_f32 v102, v103, v91 :: v_dual_add_f32 v141, v148, v141
	s_delay_alu instid0(VALU_DEP_3) | instskip(NEXT) | instid1(VALU_DEP_3)
	v_dual_add_f32 v86, v86, v99 :: v_dual_fmac_f32 v145, 0x3f167918, v142
	v_fmamk_f32 v142, v90, 0x3f737871, v143
	s_delay_alu instid0(VALU_DEP_3) | instskip(NEXT) | instid1(VALU_DEP_3)
	v_fmac_f32_e32 v146, 0x3e9e377a, v141
	v_dual_fmac_f32 v143, 0xbf737871, v90 :: v_dual_add_f32 v86, v86, v95
	s_delay_alu instid0(VALU_DEP_4) | instskip(SKIP_2) | instid1(VALU_DEP_3)
	v_dual_sub_f32 v94, v98, v94 :: v_dual_fmac_f32 v145, 0x3e9e377a, v141
	v_sub_f32_e32 v98, v103, v99
	v_fma_f32 v141, -0.5, v102, v87
	v_dual_add_f32 v148, v86, v91 :: v_dual_fmac_f32 v143, 0xbf167918, v94
	v_dual_sub_f32 v87, v99, v103 :: v_dual_fmac_f32 v142, 0x3f167918, v94
	v_sub_f32_e32 v91, v95, v91
	v_add_f32_e32 v95, v88, v104
	v_add_f32_e32 v86, v98, v144
	v_fmamk_f32 v144, v94, 0xbf737871, v141
	v_dual_fmac_f32 v141, 0x3f737871, v94 :: v_dual_add_f32 v94, v100, v96
	v_add_f32_e32 v87, v87, v91
	s_delay_alu instid0(VALU_DEP_3)
	v_dual_add_f32 v91, v95, v100 :: v_dual_fmac_f32 v144, 0x3f167918, v90
	v_sub_f32_e32 v103, v96, v92
	v_fmac_f32_e32 v143, 0x3e9e377a, v86
	v_fmac_f32_e32 v141, 0xbf167918, v90
	;; [unrolled: 1-line block ×3, first 2 shown]
	v_add_f32_e32 v86, v91, v96
	v_fma_f32 v91, -0.5, v94, v88
	v_fmac_f32_e32 v144, 0x3e9e377a, v87
	s_delay_alu instid0(VALU_DEP_3) | instskip(SKIP_2) | instid1(VALU_DEP_1)
	v_dual_fmac_f32 v141, 0x3e9e377a, v87 :: v_dual_add_f32 v98, v86, v92
	v_sub_f32_e32 v86, v101, v97
	v_sub_f32_e32 v94, v105, v93
	v_dual_add_f32 v90, v104, v92 :: v_dual_fmamk_f32 v95, v94, 0xbf737871, v91
	s_delay_alu instid0(VALU_DEP_1) | instskip(NEXT) | instid1(VALU_DEP_1)
	v_fma_f32 v87, -0.5, v90, v88
	v_fmamk_f32 v99, v86, 0x3f737871, v87
	v_fmac_f32_e32 v91, 0x3f737871, v94
	s_delay_alu instid0(VALU_DEP_2) | instskip(SKIP_1) | instid1(VALU_DEP_3)
	v_dual_fmac_f32 v99, 0xbf167918, v94 :: v_dual_sub_f32 v88, v104, v100
	v_dual_fmac_f32 v95, 0xbf167918, v86 :: v_dual_sub_f32 v90, v92, v96
	;; [unrolled: 1-line block ×3, first 2 shown]
	v_fmac_f32_e32 v87, 0xbf737871, v86
	s_delay_alu instid0(VALU_DEP_3) | instskip(NEXT) | instid1(VALU_DEP_3)
	v_add_f32_e32 v88, v88, v90
	v_dual_add_f32 v90, v102, v103 :: v_dual_sub_f32 v103, v101, v105
	s_delay_alu instid0(VALU_DEP_2) | instskip(SKIP_1) | instid1(VALU_DEP_3)
	v_dual_add_f32 v86, v101, v97 :: v_dual_fmac_f32 v91, 0x3e9e377a, v88
	v_fmac_f32_e32 v95, 0x3e9e377a, v88
	v_dual_fmac_f32 v99, 0x3e9e377a, v90 :: v_dual_add_f32 v88, v105, v93
	v_fmac_f32_e32 v87, 0x3f167918, v94
	s_delay_alu instid0(VALU_DEP_4) | instskip(SKIP_1) | instid1(VALU_DEP_4)
	v_fma_f32 v94, -0.5, v86, v89
	v_sub_f32_e32 v86, v104, v92
	v_dual_add_f32 v92, v89, v105 :: v_dual_fmac_f32 v89, -0.5, v88
	s_delay_alu instid0(VALU_DEP_4) | instskip(NEXT) | instid1(VALU_DEP_3)
	v_dual_sub_f32 v96, v100, v96 :: v_dual_fmac_f32 v87, 0x3e9e377a, v90
	v_fmamk_f32 v100, v86, 0x3f737871, v94
	v_sub_f32_e32 v90, v93, v97
	v_fmac_f32_e32 v94, 0xbf737871, v86
	s_delay_alu instid0(VALU_DEP_4) | instskip(SKIP_1) | instid1(VALU_DEP_1)
	v_fmamk_f32 v102, v96, 0xbf737871, v89
	v_dual_fmac_f32 v89, 0x3f737871, v96 :: v_dual_sub_f32 v88, v105, v101
	v_dual_fmac_f32 v89, 0xbf167918, v86 :: v_dual_sub_f32 v104, v97, v93
	s_delay_alu instid0(VALU_DEP_2) | instskip(NEXT) | instid1(VALU_DEP_2)
	v_add_f32_e32 v88, v88, v90
	v_add_f32_e32 v90, v103, v104
	s_delay_alu instid0(VALU_DEP_1) | instskip(NEXT) | instid1(VALU_DEP_1)
	v_fmac_f32_e32 v89, 0x3e9e377a, v90
	v_mul_f32_e32 v103, 0xbf737871, v89
	v_fmac_f32_e32 v102, 0x3f167918, v86
	v_add_f32_e32 v86, v92, v101
	s_delay_alu instid0(VALU_DEP_3) | instskip(NEXT) | instid1(VALU_DEP_2)
	v_dual_mul_f32 v152, 0xbe9e377a, v89 :: v_dual_fmac_f32 v103, 0xbe9e377a, v87
	v_add_f32_e32 v86, v86, v97
	v_fmac_f32_e32 v100, 0x3f167918, v96
	s_delay_alu instid0(VALU_DEP_3) | instskip(NEXT) | instid1(VALU_DEP_3)
	v_fmac_f32_e32 v152, 0x3f737871, v87
	v_dual_mul_f32 v150, 0x3f167918, v95 :: v_dual_add_f32 v105, v86, v93
	s_delay_alu instid0(VALU_DEP_3) | instskip(NEXT) | instid1(VALU_DEP_3)
	v_fmac_f32_e32 v100, 0x3e9e377a, v88
	v_add_f32_e32 v93, v141, v152
	s_delay_alu instid0(VALU_DEP_3) | instskip(SKIP_1) | instid1(VALU_DEP_4)
	v_dual_add_f32 v92, v145, v103 :: v_dual_add_f32 v87, v148, v105
	v_fmac_f32_e32 v94, 0xbf167918, v96
	v_dual_mul_f32 v97, 0xbf167918, v100 :: v_dual_sub_f32 v96, v149, v98
	s_delay_alu instid0(VALU_DEP_1) | instskip(NEXT) | instid1(VALU_DEP_3)
	v_fmac_f32_e32 v97, 0x3f4f1bbd, v95
	v_fmac_f32_e32 v94, 0x3e9e377a, v88
	s_delay_alu instid0(VALU_DEP_1) | instskip(NEXT) | instid1(VALU_DEP_1)
	v_dual_add_f32 v88, v147, v97 :: v_dual_mul_f32 v153, 0xbf4f1bbd, v94
	v_fmac_f32_e32 v153, 0x3f167918, v91
	s_delay_alu instid0(VALU_DEP_1) | instskip(NEXT) | instid1(VALU_DEP_1)
	v_dual_fmac_f32 v102, 0x3e9e377a, v90 :: v_dual_add_f32 v95, v143, v153
	v_mul_f32_e32 v151, 0x3e9e377a, v102
	v_mul_f32_e32 v104, 0xbf167918, v94
	v_add_f32_e32 v86, v149, v98
	v_fmac_f32_e32 v150, 0x3f4f1bbd, v100
	s_delay_alu instid0(VALU_DEP_4) | instskip(NEXT) | instid1(VALU_DEP_4)
	v_dual_sub_f32 v98, v147, v97 :: v_dual_fmac_f32 v151, 0x3f737871, v99
	v_dual_fmac_f32 v104, 0xbf4f1bbd, v91 :: v_dual_sub_f32 v97, v148, v105
	s_delay_alu instid0(VALU_DEP_3) | instskip(SKIP_1) | instid1(VALU_DEP_4)
	v_add_f32_e32 v89, v142, v150
	v_sub_f32_e32 v105, v143, v153
	v_add_f32_e32 v91, v144, v151
	v_dual_mul_f32 v101, 0xbf737871, v102 :: v_dual_sub_f32 v102, v145, v103
	v_sub_f32_e32 v103, v141, v152
	s_delay_alu instid0(VALU_DEP_2) | instskip(SKIP_2) | instid1(VALU_DEP_3)
	v_fmac_f32_e32 v101, 0x3e9e377a, v99
	v_dual_sub_f32 v99, v142, v150 :: v_dual_add_f32 v94, v77, v104
	v_sub_f32_e32 v104, v77, v104
	v_add_f32_e32 v90, v146, v101
	v_dual_sub_f32 v100, v146, v101 :: v_dual_sub_f32 v101, v144, v151
	ds_store_b128 v140, v[86:89]
	ds_store_b128 v140, v[90:93] offset:16
	ds_store_b128 v140, v[94:97] offset:32
	;; [unrolled: 1-line block ×4, first 2 shown]
	s_and_saveexec_b32 s0, vcc_lo
	s_cbranch_execz .LBB0_13
; %bb.12:
	v_dual_add_f32 v77, v75, v5 :: v_dual_add_f32 v88, v17, v7
	v_dual_add_f32 v89, v16, v6 :: v_dual_sub_f32 v90, v82, v8
	v_dual_sub_f32 v92, v84, v10 :: v_dual_sub_f32 v95, v11, v7
	s_delay_alu instid0(VALU_DEP_3)
	v_fma_f32 v93, -0.5, v88, v81
	v_dual_sub_f32 v88, v85, v17 :: v_dual_sub_f32 v97, v16, v6
	v_dual_sub_f32 v86, v83, v75 :: v_dual_sub_f32 v87, v9, v5
	v_fma_f32 v77, -0.5, v77, v79
	v_dual_sub_f32 v91, v84, v16 :: v_dual_sub_f32 v94, v85, v11
	v_fma_f32 v89, -0.5, v89, v80
	v_dual_sub_f32 v98, v10, v6 :: v_dual_add_f32 v95, v88, v95
	v_fmamk_f32 v96, v92, 0xbf737871, v93
	s_delay_alu instid0(VALU_DEP_3) | instskip(SKIP_1) | instid1(VALU_DEP_3)
	v_dual_sub_f32 v100, v17, v7 :: v_dual_fmamk_f32 v99, v94, 0x3f737871, v89
	v_fmamk_f32 v101, v90, 0xbf737871, v77
	v_dual_add_f32 v91, v91, v98 :: v_dual_fmac_f32 v96, 0xbf167918, v97
	v_dual_add_f32 v87, v86, v87 :: v_dual_add_f32 v86, v83, v9
	s_delay_alu instid0(VALU_DEP_4) | instskip(SKIP_1) | instid1(VALU_DEP_3)
	v_dual_fmac_f32 v99, 0x3f167918, v100 :: v_dual_sub_f32 v104, v5, v9
	v_dual_sub_f32 v102, v74, v4 :: v_dual_sub_f32 v103, v75, v83
	v_fma_f32 v140, -0.5, v86, v79
	v_add_f32_e32 v86, v84, v10
	v_fmac_f32_e32 v96, 0x3e9e377a, v95
	v_fmac_f32_e32 v99, 0x3e9e377a, v91
	v_add_f32_e32 v103, v103, v104
	v_fmac_f32_e32 v101, 0xbf167918, v102
	s_delay_alu instid0(VALU_DEP_4) | instskip(SKIP_1) | instid1(VALU_DEP_3)
	v_dual_add_f32 v105, v85, v11 :: v_dual_mul_f32 v98, 0xbf4f1bbd, v96
	v_fma_f32 v141, -0.5, v86, v80
	v_dual_sub_f32 v86, v17, v85 :: v_dual_fmac_f32 v101, 0x3e9e377a, v87
	v_sub_f32_e32 v144, v16, v84
	s_delay_alu instid0(VALU_DEP_4) | instskip(SKIP_2) | instid1(VALU_DEP_3)
	v_dual_fmac_f32 v98, 0x3f167918, v99 :: v_dual_sub_f32 v145, v6, v10
	v_fma_f32 v104, -0.5, v105, v81
	v_dual_fmamk_f32 v105, v102, 0x3f737871, v140 :: v_dual_sub_f32 v142, v7, v11
	v_sub_f32_e32 v88, v101, v98
	v_dual_fmamk_f32 v146, v100, 0xbf737871, v141 :: v_dual_add_f32 v79, v79, v83
	s_delay_alu instid0(VALU_DEP_4) | instskip(SKIP_3) | instid1(VALU_DEP_4)
	v_fmamk_f32 v143, v97, 0x3f737871, v104
	v_dual_fmac_f32 v104, 0xbf737871, v97 :: v_dual_fmac_f32 v89, 0xbf737871, v94
	v_add_f32_e32 v86, v86, v142
	v_dual_fmac_f32 v105, 0xbf167918, v90 :: v_dual_add_f32 v142, v144, v145
	v_fmac_f32_e32 v143, 0xbf167918, v92
	s_delay_alu instid0(VALU_DEP_4)
	v_fmac_f32_e32 v89, 0xbf167918, v100
	v_fmac_f32_e32 v93, 0x3f737871, v92
	;; [unrolled: 1-line block ×7, first 2 shown]
	v_dual_fmac_f32 v105, 0x3e9e377a, v103 :: v_dual_fmac_f32 v146, 0x3e9e377a, v142
	v_fmac_f32_e32 v141, 0x3f737871, v100
	v_fmac_f32_e32 v77, 0x3f167918, v102
	;; [unrolled: 1-line block ×4, first 2 shown]
	v_dual_fmac_f32 v140, 0xbf737871, v102 :: v_dual_sub_f32 v83, v83, v9
	v_fmac_f32_e32 v141, 0xbf167918, v94
	s_delay_alu instid0(VALU_DEP_4) | instskip(NEXT) | instid1(VALU_DEP_4)
	v_mul_f32_e32 v94, 0x3e9e377a, v104
	v_dual_mul_f32 v144, 0xbe9e377a, v143 :: v_dual_add_f32 v81, v81, v85
	s_delay_alu instid0(VALU_DEP_4) | instskip(SKIP_1) | instid1(VALU_DEP_3)
	v_dual_fmac_f32 v140, 0x3f167918, v90 :: v_dual_mul_f32 v97, 0x3f167918, v89
	v_dual_add_f32 v79, v79, v75 :: v_dual_mul_f32 v96, 0xbf167918, v96
	v_dual_fmac_f32 v144, 0x3f737871, v146 :: v_dual_add_f32 v17, v81, v17
	s_delay_alu instid0(VALU_DEP_3) | instskip(NEXT) | instid1(VALU_DEP_3)
	v_dual_fmac_f32 v140, 0x3e9e377a, v103 :: v_dual_sub_f32 v75, v75, v5
	v_fmac_f32_e32 v96, 0xbf4f1bbd, v99
	s_delay_alu instid0(VALU_DEP_3) | instskip(NEXT) | instid1(VALU_DEP_4)
	v_dual_sub_f32 v86, v105, v144 :: v_dual_fmac_f32 v141, 0x3e9e377a, v142
	v_add_f32_e32 v7, v17, v7
	v_add_f32_e32 v17, v82, v8
	v_dual_add_f32 v5, v79, v5 :: v_dual_add_f32 v90, v74, v4
	s_delay_alu instid0(VALU_DEP_4) | instskip(NEXT) | instid1(VALU_DEP_4)
	v_fmac_f32_e32 v94, 0x3f737871, v141
	v_add_f32_e32 v100, v7, v11
	s_delay_alu instid0(VALU_DEP_4)
	v_fma_f32 v17, -0.5, v17, v78
	v_sub_f32_e32 v81, v82, v74
	v_add_f32_e32 v11, v80, v84
	v_fma_f32 v85, -0.5, v90, v78
	v_sub_f32_e32 v92, v140, v94
	v_fmamk_f32 v102, v75, 0xbf737871, v17
	s_delay_alu instid0(VALU_DEP_4) | instskip(SKIP_1) | instid1(VALU_DEP_3)
	v_add_f32_e32 v11, v11, v16
	v_mul_f32_e32 v16, 0xbf737871, v104
	v_fmac_f32_e32 v102, 0x3f167918, v83
	v_fmac_f32_e32 v77, 0x3e9e377a, v87
	s_delay_alu instid0(VALU_DEP_3) | instskip(NEXT) | instid1(VALU_DEP_1)
	v_dual_sub_f32 v87, v8, v4 :: v_dual_fmac_f32 v16, 0x3e9e377a, v141
	v_add_f32_e32 v79, v81, v87
	v_add_f32_e32 v81, v5, v9
	v_sub_f32_e32 v5, v74, v82
	v_sub_f32_e32 v9, v4, v8
	s_delay_alu instid0(VALU_DEP_1) | instskip(SKIP_1) | instid1(VALU_DEP_2)
	v_add_f32_e32 v5, v5, v9
	v_dual_add_f32 v9, v78, v82 :: v_dual_mul_f32 v82, 0xbf737871, v143
	v_dual_fmac_f32 v102, 0x3e9e377a, v5 :: v_dual_fmac_f32 v93, 0x3e9e377a, v95
	s_delay_alu instid0(VALU_DEP_2) | instskip(SKIP_1) | instid1(VALU_DEP_4)
	v_fmac_f32_e32 v82, 0xbe9e377a, v146
	v_dual_fmac_f32 v17, 0x3f737871, v75 :: v_dual_add_f32 v78, v81, v100
	v_add_f32_e32 v9, v9, v74
	s_delay_alu instid0(VALU_DEP_4) | instskip(SKIP_1) | instid1(VALU_DEP_4)
	v_fmac_f32_e32 v97, 0x3f4f1bbd, v93
	v_fmamk_f32 v95, v83, 0x3f737871, v85
	v_fmac_f32_e32 v17, 0xbf167918, v83
	s_delay_alu instid0(VALU_DEP_4) | instskip(NEXT) | instid1(VALU_DEP_4)
	v_dual_fmac_f32 v85, 0xbf737871, v83 :: v_dual_add_f32 v4, v9, v4
	v_sub_f32_e32 v90, v77, v97
	v_mul_f32_e32 v74, 0xbf167918, v93
	s_delay_alu instid0(VALU_DEP_4) | instskip(SKIP_4) | instid1(VALU_DEP_3)
	v_fmac_f32_e32 v17, 0x3e9e377a, v5
	v_add_f32_e32 v5, v11, v6
	v_fmac_f32_e32 v85, 0xbf167918, v75
	v_dual_fmac_f32 v95, 0x3f167918, v75 :: v_dual_add_f32 v4, v4, v8
	v_fmac_f32_e32 v74, 0x3f4f1bbd, v89
	v_dual_add_f32 v8, v5, v10 :: v_dual_fmac_f32 v85, 0x3e9e377a, v79
	s_delay_alu instid0(VALU_DEP_3) | instskip(SKIP_1) | instid1(VALU_DEP_3)
	v_dual_fmac_f32 v95, 0x3e9e377a, v79 :: v_dual_add_f32 v80, v77, v97
	v_lshl_add_u32 v75, v133, 3, v131
	v_dual_sub_f32 v6, v4, v8 :: v_dual_add_f32 v79, v85, v74
	v_add_f32_e32 v77, v4, v8
	v_dual_sub_f32 v7, v81, v100 :: v_dual_add_f32 v10, v102, v82
	v_add_f32_e32 v11, v105, v144
	v_dual_add_f32 v9, v140, v94 :: v_dual_add_f32 v8, v17, v16
	v_dual_add_f32 v5, v101, v98 :: v_dual_add_f32 v4, v95, v96
	v_sub_f32_e32 v91, v17, v16
	v_sub_f32_e32 v89, v85, v74
	;; [unrolled: 1-line block ×4, first 2 shown]
	ds_store_b128 v75, v[77:80]
	ds_store_b128 v75, v[8:11] offset:16
	ds_store_b128 v75, v[4:7] offset:32
	;; [unrolled: 1-line block ×4, first 2 shown]
.LBB0_13:
	s_wait_alu 0xfffe
	s_or_b32 exec_lo, exec_lo, s0
	global_wb scope:SCOPE_SE
	s_wait_dscnt 0x0
	s_barrier_signal -1
	s_barrier_wait -1
	global_inv scope:SCOPE_SE
	ds_load_2addr_b64 v[6:9], v130 offset0:60 offset1:90
	ds_load_2addr_b64 v[77:80], v130 offset0:180 offset1:210
	v_add_nc_u32_e32 v5, 0x400, v130
	v_add_nc_u32_e32 v4, 0x800, v130
	ds_load_2addr_b64 v[81:84], v130 offset0:120 offset1:150
	s_mov_b32 s2, 0x789abcdf
	s_mov_b32 s3, 0x3f623456
	s_wait_dscnt 0x2
	v_mul_f32_e32 v17, v31, v8
	v_mul_f32_e32 v16, v31, v9
	ds_load_2addr_b64 v[85:88], v5 offset0:112 offset1:142
	ds_load_2addr_b64 v[89:92], v4 offset0:104 offset1:134
	ds_load_2addr_b64 v[93:96], v130 offset1:30
	ds_load_b64 v[10:11], v130 offset:3360
	ds_load_2addr_b64 v[97:100], v4 offset0:44 offset1:74
	s_wait_dscnt 0x6
	v_mul_f32_e32 v31, v33, v78
	s_wait_dscnt 0x5
	v_dual_mul_f32 v33, v33, v77 :: v_dual_mul_f32 v74, v23, v82
	v_fmac_f32_e32 v16, v30, v8
	v_fma_f32 v17, v30, v9, -v17
	v_fmac_f32_e32 v31, v32, v77
	s_delay_alu instid0(VALU_DEP_4)
	v_dual_mul_f32 v75, v19, v84 :: v_dual_fmac_f32 v74, v22, v81
	global_wb scope:SCOPE_SE
	s_wait_dscnt 0x0
	s_barrier_signal -1
	s_barrier_wait -1
	global_inv scope:SCOPE_SE
	v_mul_f32_e32 v30, v27, v88
	v_mul_f32_e32 v23, v23, v81
	v_dual_mul_f32 v8, v27, v87 :: v_dual_mul_f32 v9, v29, v90
	v_mul_f32_e32 v27, v29, v89
	v_fma_f32 v29, v32, v78, -v33
	v_mul_f32_e32 v32, v15, v92
	v_fmac_f32_e32 v30, v26, v87
	v_fma_f32 v26, v26, v88, -v8
	v_dual_fmac_f32 v9, v28, v89 :: v_dual_mul_f32 v8, v25, v79
	v_fma_f32 v27, v28, v90, -v27
	v_fma_f32 v28, v22, v82, -v23
	v_mul_f32_e32 v23, v25, v80
	v_dual_mul_f32 v25, v13, v98 :: v_dual_fmac_f32 v32, v14, v91
	v_mul_f32_e32 v13, v13, v97
	v_dual_mul_f32 v77, v21, v86 :: v_dual_mul_f32 v82, v3, v11
	s_delay_alu instid0(VALU_DEP_4)
	v_fmac_f32_e32 v23, v24, v79
	v_fma_f32 v24, v24, v80, -v8
	v_dual_mul_f32 v8, v15, v91 :: v_dual_fmac_f32 v25, v12, v97
	v_fma_f32 v33, v12, v98, -v13
	v_dual_mul_f32 v12, v19, v83 :: v_dual_mul_f32 v13, v21, v85
	v_fmac_f32_e32 v82, v2, v10
	s_delay_alu instid0(VALU_DEP_4) | instskip(SKIP_1) | instid1(VALU_DEP_4)
	v_fma_f32 v78, v14, v92, -v8
	v_add_f32_e32 v8, v31, v30
	v_fma_f32 v79, v18, v84, -v12
	v_fma_f32 v80, v20, v86, -v13
	v_mul_f32_e32 v12, v1, v99
	v_dual_add_f32 v13, v93, v16 :: v_dual_sub_f32 v14, v16, v31
	v_sub_f32_e32 v15, v17, v27
	v_mul_f32_e32 v81, v1, v100
	v_fma_f32 v1, -0.5, v8, v93
	v_fmac_f32_e32 v77, v20, v85
	v_dual_fmac_f32 v75, v18, v83 :: v_dual_sub_f32 v18, v9, v30
	s_delay_alu instid0(VALU_DEP_3)
	v_dual_add_f32 v19, v16, v9 :: v_dual_fmamk_f32 v8, v15, 0xbf737871, v1
	v_fmac_f32_e32 v81, v0, v99
	v_fma_f32 v0, v0, v100, -v12
	v_add_f32_e32 v12, v13, v31
	v_add_f32_e32 v18, v14, v18
	;; [unrolled: 1-line block ×4, first 2 shown]
	s_delay_alu instid0(VALU_DEP_4) | instskip(SKIP_1) | instid1(VALU_DEP_2)
	v_add_f32_e32 v12, v12, v30
	v_sub_f32_e32 v13, v29, v26
	v_dual_fmac_f32 v1, 0x3f737871, v15 :: v_dual_add_f32 v12, v12, v9
	s_delay_alu instid0(VALU_DEP_2) | instskip(SKIP_1) | instid1(VALU_DEP_2)
	v_dual_mul_f32 v3, v3, v10 :: v_dual_fmac_f32 v8, 0xbf167918, v13
	v_fma_f32 v10, -0.5, v19, v93
	v_fmac_f32_e32 v8, 0x3e9e377a, v18
	s_delay_alu instid0(VALU_DEP_2) | instskip(NEXT) | instid1(VALU_DEP_4)
	v_fmamk_f32 v14, v13, 0x3f737871, v10
	v_fma_f32 v3, v2, v11, -v3
	v_dual_sub_f32 v11, v30, v9 :: v_dual_sub_f32 v2, v31, v16
	s_delay_alu instid0(VALU_DEP_3) | instskip(SKIP_1) | instid1(VALU_DEP_3)
	v_dual_add_f32 v19, v94, v17 :: v_dual_fmac_f32 v14, 0xbf167918, v15
	v_fmac_f32_e32 v1, 0x3f167918, v13
	v_dual_fmac_f32 v10, 0xbf737871, v13 :: v_dual_add_f32 v11, v2, v11
	s_delay_alu instid0(VALU_DEP_3) | instskip(SKIP_1) | instid1(VALU_DEP_3)
	v_add_f32_e32 v13, v19, v29
	v_fma_f32 v2, -0.5, v20, v94
	v_dual_sub_f32 v19, v16, v9 :: v_dual_fmac_f32 v10, 0x3f167918, v15
	s_delay_alu instid0(VALU_DEP_3)
	v_dual_fmac_f32 v14, 0x3e9e377a, v11 :: v_dual_add_f32 v13, v13, v26
	v_add_f32_e32 v15, v17, v27
	v_dual_fmac_f32 v1, 0x3e9e377a, v18 :: v_dual_sub_f32 v16, v17, v29
	v_sub_f32_e32 v18, v31, v30
	v_fmac_f32_e32 v10, 0x3e9e377a, v11
	v_dual_sub_f32 v20, v27, v26 :: v_dual_add_f32 v13, v13, v27
	v_fmamk_f32 v9, v19, 0x3f737871, v2
	v_fma_f32 v11, -0.5, v15, v94
	v_fmac_f32_e32 v2, 0xbf737871, v19
	s_delay_alu instid0(VALU_DEP_4) | instskip(NEXT) | instid1(VALU_DEP_4)
	v_add_f32_e32 v20, v16, v20
	v_dual_sub_f32 v16, v29, v17 :: v_dual_fmac_f32 v9, 0x3f167918, v18
	s_delay_alu instid0(VALU_DEP_4) | instskip(NEXT) | instid1(VALU_DEP_4)
	v_fmamk_f32 v15, v18, 0xbf737871, v11
	v_dual_sub_f32 v17, v26, v27 :: v_dual_fmac_f32 v2, 0xbf167918, v18
	v_add_f32_e32 v21, v23, v25
	s_delay_alu instid0(VALU_DEP_4) | instskip(NEXT) | instid1(VALU_DEP_4)
	v_fmac_f32_e32 v9, 0x3e9e377a, v20
	v_dual_fmac_f32 v15, 0x3f167918, v19 :: v_dual_sub_f32 v26, v24, v33
	s_delay_alu instid0(VALU_DEP_4)
	v_dual_add_f32 v17, v16, v17 :: v_dual_fmac_f32 v2, 0x3e9e377a, v20
	v_add_f32_e32 v20, v22, v23
	v_fma_f32 v16, -0.5, v21, v95
	v_dual_sub_f32 v21, v28, v78 :: v_dual_sub_f32 v22, v74, v23
	v_fmac_f32_e32 v11, 0x3f737871, v18
	v_sub_f32_e32 v27, v32, v25
	v_add_f32_e32 v30, v24, v33
	s_delay_alu instid0(VALU_DEP_4) | instskip(SKIP_2) | instid1(VALU_DEP_3)
	v_dual_fmamk_f32 v18, v21, 0xbf737871, v16 :: v_dual_add_f32 v29, v74, v32
	v_fmac_f32_e32 v16, 0x3f737871, v21
	v_fmac_f32_e32 v11, 0xbf167918, v19
	v_dual_add_f32 v27, v22, v27 :: v_dual_fmac_f32 v18, 0xbf167918, v26
	s_delay_alu instid0(VALU_DEP_4) | instskip(NEXT) | instid1(VALU_DEP_4)
	v_fma_f32 v95, -0.5, v29, v95
	v_dual_fmac_f32 v16, 0x3f167918, v26 :: v_dual_add_f32 v19, v20, v25
	s_delay_alu instid0(VALU_DEP_3) | instskip(SKIP_1) | instid1(VALU_DEP_4)
	v_dual_fmac_f32 v11, 0x3e9e377a, v17 :: v_dual_fmac_f32 v18, 0x3e9e377a, v27
	v_fmac_f32_e32 v15, 0x3e9e377a, v17
	v_dual_fmamk_f32 v22, v26, 0x3f737871, v95 :: v_dual_sub_f32 v17, v23, v74
	s_delay_alu instid0(VALU_DEP_4) | instskip(SKIP_2) | instid1(VALU_DEP_4)
	v_add_f32_e32 v20, v19, v32
	v_sub_f32_e32 v19, v25, v32
	v_dual_add_f32 v29, v96, v28 :: v_dual_fmac_f32 v16, 0x3e9e377a, v27
	v_dual_add_f32 v27, v28, v78 :: v_dual_fmac_f32 v22, 0xbf167918, v21
	s_delay_alu instid0(VALU_DEP_3) | instskip(SKIP_1) | instid1(VALU_DEP_4)
	v_add_f32_e32 v31, v17, v19
	v_fmac_f32_e32 v95, 0xbf737871, v26
	v_add_f32_e32 v19, v29, v24
	v_fma_f32 v17, -0.5, v30, v96
	v_dual_sub_f32 v26, v74, v32 :: v_dual_sub_f32 v25, v23, v25
	v_dual_sub_f32 v23, v28, v24 :: v_dual_sub_f32 v30, v75, v77
	v_dual_sub_f32 v29, v78, v33 :: v_dual_add_f32 v32, v75, v82
	v_dual_fmac_f32 v96, -0.5, v27 :: v_dual_fmac_f32 v95, 0x3f167918, v21
	v_sub_f32_e32 v24, v24, v28
	v_sub_f32_e32 v28, v33, v78
	v_dual_fmac_f32 v22, 0x3e9e377a, v31 :: v_dual_add_f32 v21, v19, v33
	v_fmamk_f32 v19, v26, 0x3f737871, v17
	v_add_f32_e32 v27, v23, v29
	v_fmamk_f32 v23, v25, 0xbf737871, v96
	v_fmac_f32_e32 v96, 0x3f737871, v25
	v_dual_fmac_f32 v17, 0xbf737871, v26 :: v_dual_add_f32 v28, v24, v28
	v_add_f32_e32 v29, v77, v81
	v_sub_f32_e32 v33, v75, v82
	s_delay_alu instid0(VALU_DEP_4)
	v_fmac_f32_e32 v96, 0xbf167918, v26
	v_fmac_f32_e32 v95, 0x3e9e377a, v31
	v_sub_f32_e32 v31, v82, v81
	v_fmac_f32_e32 v19, 0x3f167918, v25
	v_fmac_f32_e32 v17, 0xbf167918, v25
	v_fma_f32 v24, -0.5, v29, v6
	v_sub_f32_e32 v29, v79, v3
	v_add_f32_e32 v30, v30, v31
	v_add_f32_e32 v25, v6, v75
	v_fma_f32 v6, -0.5, v32, v6
	v_sub_f32_e32 v31, v77, v75
	v_dual_sub_f32 v32, v81, v82 :: v_dual_sub_f32 v75, v3, v0
	s_delay_alu instid0(VALU_DEP_4) | instskip(SKIP_1) | instid1(VALU_DEP_3)
	v_add_f32_e32 v25, v25, v77
	v_dual_add_f32 v21, v21, v78 :: v_dual_fmac_f32 v96, 0x3e9e377a, v28
	v_add_f32_e32 v31, v31, v32
	v_dual_add_f32 v32, v79, v3 :: v_dual_fmac_f32 v23, 0x3f167918, v26
	s_delay_alu instid0(VALU_DEP_4) | instskip(SKIP_2) | instid1(VALU_DEP_4)
	v_add_f32_e32 v25, v25, v81
	v_fmamk_f32 v26, v29, 0xbf737871, v24
	v_fmac_f32_e32 v24, 0x3f737871, v29
	v_dual_sub_f32 v74, v77, v81 :: v_dual_fmac_f32 v23, 0x3e9e377a, v28
	s_delay_alu instid0(VALU_DEP_4) | instskip(SKIP_4) | instid1(VALU_DEP_3)
	v_dual_add_f32 v28, v25, v82 :: v_dual_fmac_f32 v19, 0x3e9e377a, v27
	v_fmac_f32_e32 v17, 0x3e9e377a, v27
	v_sub_f32_e32 v27, v80, v0
	v_add_f32_e32 v25, v80, v0
	v_sub_f32_e32 v77, v80, v79
	v_fmac_f32_e32 v26, 0xbf167918, v27
	v_fmac_f32_e32 v24, 0x3f167918, v27
	s_delay_alu instid0(VALU_DEP_4) | instskip(NEXT) | instid1(VALU_DEP_3)
	v_fma_f32 v25, -0.5, v25, v7
	v_fmac_f32_e32 v26, 0x3e9e377a, v30
	s_delay_alu instid0(VALU_DEP_3) | instskip(SKIP_1) | instid1(VALU_DEP_1)
	v_fmac_f32_e32 v24, 0x3e9e377a, v30
	v_fmamk_f32 v30, v27, 0x3f737871, v6
	v_fmac_f32_e32 v30, 0xbf167918, v29
	v_fmac_f32_e32 v6, 0xbf737871, v27
	v_add_f32_e32 v27, v7, v79
	v_fmac_f32_e32 v7, -0.5, v32
	v_sub_f32_e32 v32, v79, v80
	s_delay_alu instid0(VALU_DEP_3) | instskip(NEXT) | instid1(VALU_DEP_2)
	v_dual_fmac_f32 v6, 0x3f167918, v29 :: v_dual_add_f32 v29, v27, v80
	v_add_f32_e32 v32, v32, v75
	v_fmac_f32_e32 v30, 0x3e9e377a, v31
	s_delay_alu instid0(VALU_DEP_3) | instskip(SKIP_4) | instid1(VALU_DEP_4)
	v_dual_fmac_f32 v6, 0x3e9e377a, v31 :: v_dual_add_f32 v29, v29, v0
	v_dual_fmamk_f32 v31, v74, 0xbf737871, v7 :: v_dual_sub_f32 v0, v0, v3
	v_fmamk_f32 v27, v33, 0x3f737871, v25
	v_fmac_f32_e32 v25, 0xbf737871, v33
	v_fmac_f32_e32 v7, 0x3f737871, v74
	v_dual_fmac_f32 v31, 0x3f167918, v33 :: v_dual_add_f32 v0, v77, v0
	s_delay_alu instid0(VALU_DEP_4) | instskip(NEXT) | instid1(VALU_DEP_4)
	v_fmac_f32_e32 v27, 0x3f167918, v74
	v_fmac_f32_e32 v25, 0xbf167918, v74
	s_delay_alu instid0(VALU_DEP_4)
	v_fmac_f32_e32 v7, 0xbf167918, v33
	v_add_f32_e32 v29, v29, v3
	v_fmac_f32_e32 v31, 0x3e9e377a, v0
	v_fmac_f32_e32 v27, 0x3e9e377a, v32
	;; [unrolled: 1-line block ×4, first 2 shown]
	ds_store_2addr_b64 v136, v[12:13], v[8:9] offset1:10
	ds_store_2addr_b64 v136, v[14:15], v[10:11] offset0:20 offset1:30
	ds_store_b64 v136, v[1:2] offset:320
	ds_store_2addr_b64 v135, v[20:21], v[18:19] offset1:10
	ds_store_2addr_b64 v135, v[22:23], v[95:96] offset0:20 offset1:30
	ds_store_b64 v135, v[16:17] offset:320
	;; [unrolled: 3-line block ×3, first 2 shown]
	global_wb scope:SCOPE_SE
	s_wait_dscnt 0x0
	s_barrier_signal -1
	s_barrier_wait -1
	global_inv scope:SCOPE_SE
	ds_load_2addr_b64 v[0:3], v130 offset0:120 offset1:150
	ds_load_2addr_b64 v[6:9], v4 offset0:44 offset1:74
	;; [unrolled: 1-line block ×3, first 2 shown]
	ds_load_2addr_b64 v[14:17], v130 offset1:30
	ds_load_2addr_b64 v[18:21], v130 offset0:60 offset1:90
	ds_load_2addr_b64 v[22:25], v4 offset0:104 offset1:134
	;; [unrolled: 1-line block ×3, first 2 shown]
	ds_load_b64 v[30:31], v130 offset:3360
	global_wb scope:SCOPE_SE
	s_wait_dscnt 0x0
	s_barrier_signal -1
	s_barrier_wait -1
	global_inv scope:SCOPE_SE
	v_mul_f32_e32 v32, v51, v3
	s_delay_alu instid0(VALU_DEP_1) | instskip(SKIP_3) | instid1(VALU_DEP_3)
	v_fmac_f32_e32 v32, v50, v2
	v_mul_f32_e32 v33, v51, v2
	v_mul_f32_e32 v51, v53, v7
	;; [unrolled: 1-line block ×3, first 2 shown]
	v_fma_f32 v3, v50, v3, -v33
	v_mul_f32_e32 v33, v47, v11
	s_delay_alu instid0(VALU_DEP_4) | instskip(SKIP_2) | instid1(VALU_DEP_4)
	v_fmac_f32_e32 v51, v52, v6
	v_mul_f32_e32 v6, v47, v10
	v_fma_f32 v7, v52, v7, -v2
	v_dual_mul_f32 v2, v49, v8 :: v_dual_fmac_f32 v33, v46, v10
	s_delay_alu instid0(VALU_DEP_3) | instskip(SKIP_2) | instid1(VALU_DEP_4)
	v_fma_f32 v11, v46, v11, -v6
	v_mul_f32_e32 v46, v43, v13
	v_mul_f32_e32 v6, v43, v12
	v_fma_f32 v43, v48, v9, -v2
	v_mul_f32_e32 v47, v49, v9
	v_mul_f32_e32 v2, v45, v22
	v_fmac_f32_e32 v46, v42, v12
	v_fma_f32 v42, v42, v13, -v6
	s_delay_alu instid0(VALU_DEP_4)
	v_dual_mul_f32 v6, v39, v26 :: v_dual_fmac_f32 v47, v48, v8
	v_mul_f32_e32 v48, v45, v23
	v_mul_f32_e32 v45, v39, v27
	v_add_f32_e32 v12, v15, v3
	v_fma_f32 v23, v44, v23, -v2
	v_mul_f32_e32 v2, v41, v24
	v_dual_fmac_f32 v48, v44, v22 :: v_dual_add_f32 v9, v3, v7
	v_sub_f32_e32 v10, v3, v7
	v_add_f32_e32 v7, v12, v7
	v_dual_add_f32 v12, v16, v33 :: v_dual_fmac_f32 v45, v38, v26
	v_fma_f32 v26, v38, v27, -v6
	v_mul_f32_e32 v38, v35, v29
	v_dual_mul_f32 v6, v35, v28 :: v_dual_mul_f32 v39, v41, v25
	v_fma_f32 v25, v40, v25, -v2
	v_mul_f32_e32 v2, v37, v30
	s_delay_alu instid0(VALU_DEP_4) | instskip(NEXT) | instid1(VALU_DEP_4)
	v_fmac_f32_e32 v38, v34, v28
	v_fma_f32 v28, v34, v29, -v6
	v_add_f32_e32 v6, v32, v51
	v_add_f32_e32 v8, v14, v32
	v_fma_f32 v29, v36, v31, -v2
	v_dual_mul_f32 v35, v37, v31 :: v_dual_add_f32 v22, v18, v46
	s_delay_alu instid0(VALU_DEP_4) | instskip(NEXT) | instid1(VALU_DEP_4)
	v_fma_f32 v2, -0.5, v6, v14
	v_add_f32_e32 v6, v8, v51
	v_sub_f32_e32 v14, v11, v43
	v_sub_f32_e32 v13, v32, v51
	;; [unrolled: 1-line block ×3, first 2 shown]
	v_fmamk_f32 v8, v10, 0xbf5db3d7, v2
	v_fmac_f32_e32 v2, 0x3f5db3d7, v10
	v_add_f32_e32 v10, v33, v47
	v_add_f32_e32 v32, v0, v38
	;; [unrolled: 1-line block ×3, first 2 shown]
	s_delay_alu instid0(VALU_DEP_3) | instskip(SKIP_1) | instid1(VALU_DEP_2)
	v_fma_f32 v16, -0.5, v10, v16
	v_add_f32_e32 v10, v12, v47
	v_fmamk_f32 v12, v14, 0xbf5db3d7, v16
	v_dual_fmac_f32 v16, 0x3f5db3d7, v14 :: v_dual_fmac_f32 v39, v40, v24
	v_dual_add_f32 v14, v46, v48 :: v_dual_fmac_f32 v35, v36, v30
	v_sub_f32_e32 v24, v42, v23
	v_sub_f32_e32 v30, v46, v48
	s_delay_alu instid0(VALU_DEP_3)
	v_fma_f32 v14, -0.5, v14, v18
	v_add_f32_e32 v18, v22, v48
	v_fma_f32 v3, -0.5, v9, v15
	v_sub_f32_e32 v15, v33, v47
	v_sub_f32_e32 v34, v38, v35
	v_fmamk_f32 v22, v24, 0xbf5db3d7, v14
	s_delay_alu instid0(VALU_DEP_4)
	v_dual_fmac_f32 v14, 0x3f5db3d7, v24 :: v_dual_fmamk_f32 v9, v13, 0x3f5db3d7, v3
	v_fmac_f32_e32 v3, 0xbf5db3d7, v13
	v_add_f32_e32 v13, v11, v43
	v_add_f32_e32 v11, v17, v11
	;; [unrolled: 1-line block ×4, first 2 shown]
	s_delay_alu instid0(VALU_DEP_4) | instskip(NEXT) | instid1(VALU_DEP_1)
	v_fmac_f32_e32 v17, -0.5, v13
	v_fmamk_f32 v13, v15, 0x3f5db3d7, v17
	v_fmac_f32_e32 v17, 0xbf5db3d7, v15
	v_add_f32_e32 v15, v42, v23
	s_delay_alu instid0(VALU_DEP_1) | instskip(SKIP_3) | instid1(VALU_DEP_4)
	v_fma_f32 v15, -0.5, v15, v19
	v_add_f32_e32 v19, v27, v23
	v_add_f32_e32 v27, v20, v45
	v_fma_f32 v20, -0.5, v24, v20
	v_fmamk_f32 v23, v30, 0x3f5db3d7, v15
	v_dual_fmac_f32 v15, 0xbf5db3d7, v30 :: v_dual_add_f32 v30, v26, v25
	s_delay_alu instid0(VALU_DEP_4) | instskip(NEXT) | instid1(VALU_DEP_4)
	v_dual_add_f32 v24, v27, v39 :: v_dual_add_f32 v27, v21, v26
	v_fmamk_f32 v26, v31, 0xbf5db3d7, v20
	s_delay_alu instid0(VALU_DEP_3) | instskip(NEXT) | instid1(VALU_DEP_3)
	v_dual_fmac_f32 v20, 0x3f5db3d7, v31 :: v_dual_fmac_f32 v21, -0.5, v30
	v_dual_sub_f32 v30, v45, v39 :: v_dual_add_f32 v25, v27, v25
	v_add_f32_e32 v31, v38, v35
	v_add_f32_e32 v11, v11, v43
	s_delay_alu instid0(VALU_DEP_3) | instskip(SKIP_1) | instid1(VALU_DEP_4)
	v_fmamk_f32 v27, v30, 0x3f5db3d7, v21
	v_dual_fmac_f32 v21, 0xbf5db3d7, v30 :: v_dual_add_f32 v30, v28, v29
	v_fma_f32 v0, -0.5, v31, v0
	v_sub_f32_e32 v31, v28, v29
	v_dual_add_f32 v28, v32, v35 :: v_dual_add_f32 v29, v33, v29
	s_delay_alu instid0(VALU_DEP_2)
	v_dual_fmac_f32 v1, -0.5, v30 :: v_dual_fmamk_f32 v30, v31, 0xbf5db3d7, v0
	v_fmac_f32_e32 v0, 0x3f5db3d7, v31
	ds_store_2addr_b64 v130, v[6:7], v[8:9] offset1:50
	ds_store_b64 v130, v[2:3] offset:800
	ds_store_2addr_b64 v139, v[10:11], v[12:13] offset1:50
	ds_store_b64 v139, v[16:17] offset:800
	v_fmamk_f32 v31, v34, 0x3f5db3d7, v1
	v_fmac_f32_e32 v1, 0xbf5db3d7, v34
	v_add_nc_u32_e32 v2, 0x800, v137
	ds_store_2addr_b64 v130, v[18:19], v[22:23] offset0:160 offset1:210
	ds_store_b64 v130, v[14:15] offset:2080
	ds_store_2addr_b64 v138, v[24:25], v[26:27] offset1:50
	ds_store_b64 v138, v[20:21] offset:800
	ds_store_2addr_b64 v2, v[28:29], v[30:31] offset0:44 offset1:94
	ds_store_b64 v137, v[0:1] offset:3200
	global_wb scope:SCOPE_SE
	s_wait_dscnt 0x0
	s_barrier_signal -1
	s_barrier_wait -1
	global_inv scope:SCOPE_SE
	ds_load_2addr_b64 v[0:3], v130 offset0:120 offset1:150
	ds_load_2addr_b64 v[6:9], v4 offset0:44 offset1:74
	;; [unrolled: 1-line block ×3, first 2 shown]
	ds_load_2addr_b64 v[14:17], v130 offset1:30
	ds_load_2addr_b64 v[18:21], v130 offset0:60 offset1:90
	ds_load_2addr_b64 v[22:25], v4 offset0:104 offset1:134
	;; [unrolled: 1-line block ×3, first 2 shown]
	ds_load_b64 v[30:31], v130 offset:3360
	s_wait_dscnt 0x7
	v_mul_f32_e32 v32, v71, v3
	s_wait_dscnt 0x5
	v_mul_f32_e32 v34, v67, v11
	v_mul_f32_e32 v36, v63, v13
	s_delay_alu instid0(VALU_DEP_3)
	v_fmac_f32_e32 v32, v70, v2
	s_wait_dscnt 0x1
	v_mul_f32_e32 v42, v55, v29
	v_mul_f32_e32 v5, v71, v2
	;; [unrolled: 1-line block ×4, first 2 shown]
	s_delay_alu instid0(VALU_DEP_4) | instskip(NEXT) | instid1(VALU_DEP_4)
	v_dual_mul_f32 v33, v73, v7 :: v_dual_fmac_f32 v42, v54, v28
	v_fma_f32 v3, v70, v3, -v5
	v_fmac_f32_e32 v34, v66, v10
	s_delay_alu instid0(VALU_DEP_4) | instskip(NEXT) | instid1(VALU_DEP_4)
	v_fmac_f32_e32 v40, v58, v26
	v_fmac_f32_e32 v33, v72, v6
	v_fma_f32 v6, v72, v7, -v2
	v_mul_f32_e32 v35, v69, v9
	v_dual_mul_f32 v5, v67, v10 :: v_dual_mul_f32 v2, v69, v8
	v_mul_f32_e32 v38, v65, v23
	v_fmac_f32_e32 v36, v62, v12
	s_delay_alu instid0(VALU_DEP_4) | instskip(NEXT) | instid1(VALU_DEP_4)
	v_dual_fmac_f32 v35, v68, v8 :: v_dual_add_f32 v8, v3, v6
	v_fma_f32 v10, v66, v11, -v5
	v_fma_f32 v37, v68, v9, -v2
	v_mul_f32_e32 v2, v65, v22
	v_sub_f32_e32 v9, v3, v6
	v_add_f32_e32 v11, v15, v3
	v_fma_f32 v3, -0.5, v8, v15
	v_mul_f32_e32 v5, v63, v12
	v_fma_f32 v23, v64, v23, -v2
	v_mul_f32_e32 v2, v61, v24
	v_dual_mul_f32 v41, v61, v25 :: v_dual_add_f32 v6, v11, v6
	s_delay_alu instid0(VALU_DEP_4) | instskip(SKIP_1) | instid1(VALU_DEP_4)
	v_fma_f32 v39, v62, v13, -v5
	v_mul_f32_e32 v5, v59, v26
	v_fma_f32 v25, v60, v25, -v2
	s_wait_dscnt 0x0
	v_dual_mul_f32 v2, v57, v30 :: v_dual_add_f32 v7, v14, v32
	v_sub_f32_e32 v13, v10, v37
	v_fma_f32 v26, v58, v27, -v5
	v_mul_f32_e32 v5, v55, v28
	v_mul_f32_e32 v43, v57, v31
	v_fma_f32 v31, v56, v31, -v2
	v_fmac_f32_e32 v41, v60, v24
	v_fmac_f32_e32 v38, v64, v22
	v_fma_f32 v29, v54, v29, -v5
	v_add_f32_e32 v5, v32, v33
	v_dual_add_f32 v15, v18, v36 :: v_dual_sub_f32 v24, v39, v23
	s_delay_alu instid0(VALU_DEP_4) | instskip(SKIP_1) | instid1(VALU_DEP_4)
	v_sub_f32_e32 v27, v36, v38
	v_add_f32_e32 v28, v21, v26
	v_fma_f32 v2, -0.5, v5, v14
	v_dual_add_f32 v5, v7, v33 :: v_dual_sub_f32 v14, v34, v35
	s_delay_alu instid0(VALU_DEP_2) | instskip(SKIP_2) | instid1(VALU_DEP_1)
	v_fmamk_f32 v7, v9, 0xbf5db3d7, v2
	v_fmac_f32_e32 v2, 0x3f5db3d7, v9
	v_dual_sub_f32 v12, v32, v33 :: v_dual_add_f32 v9, v34, v35
	v_fmamk_f32 v8, v12, 0x3f5db3d7, v3
	v_dual_fmac_f32 v3, 0xbf5db3d7, v12 :: v_dual_add_f32 v12, v10, v37
	s_delay_alu instid0(VALU_DEP_1) | instskip(NEXT) | instid1(VALU_DEP_1)
	v_dual_add_f32 v10, v17, v10 :: v_dual_fmac_f32 v17, -0.5, v12
	v_add_f32_e32 v10, v10, v37
	s_delay_alu instid0(VALU_DEP_2) | instskip(SKIP_1) | instid1(VALU_DEP_1)
	v_fmamk_f32 v12, v14, 0x3f5db3d7, v17
	v_dual_fmac_f32 v17, 0xbf5db3d7, v14 :: v_dual_add_f32 v14, v39, v23
	v_fma_f32 v14, -0.5, v14, v19
	v_add_f32_e32 v11, v16, v34
	v_fma_f32 v16, -0.5, v9, v16
	s_delay_alu instid0(VALU_DEP_2) | instskip(NEXT) | instid1(VALU_DEP_2)
	v_add_f32_e32 v9, v11, v35
	v_fmamk_f32 v11, v13, 0xbf5db3d7, v16
	v_dual_fmac_f32 v16, 0x3f5db3d7, v13 :: v_dual_add_f32 v13, v36, v38
	v_fmac_f32_e32 v43, v56, v30
	v_sub_f32_e32 v30, v40, v41
	s_delay_alu instid0(VALU_DEP_3) | instskip(SKIP_3) | instid1(VALU_DEP_4)
	v_fma_f32 v13, -0.5, v13, v18
	v_add_f32_e32 v18, v15, v38
	v_add_f32_e32 v15, v19, v39
	v_sub_f32_e32 v32, v42, v43
	v_fmamk_f32 v22, v24, 0xbf5db3d7, v13
	v_fmac_f32_e32 v13, 0x3f5db3d7, v24
	s_delay_alu instid0(VALU_DEP_4) | instskip(SKIP_4) | instid1(VALU_DEP_4)
	v_add_f32_e32 v19, v15, v23
	v_add_f32_e32 v15, v40, v41
	v_fmamk_f32 v23, v27, 0x3f5db3d7, v14
	v_dual_fmac_f32 v14, 0xbf5db3d7, v27 :: v_dual_add_f32 v27, v26, v25
	v_add_f32_e32 v24, v20, v40
	v_fma_f32 v20, -0.5, v15, v20
	v_sub_f32_e32 v15, v26, v25
	v_add_f32_e32 v25, v28, v25
	v_dual_fmac_f32 v21, -0.5, v27 :: v_dual_add_f32 v28, v0, v42
	v_add_f32_e32 v24, v24, v41
	s_delay_alu instid0(VALU_DEP_4)
	v_fmamk_f32 v26, v15, 0xbf5db3d7, v20
	v_fmac_f32_e32 v20, 0x3f5db3d7, v15
	v_add_f32_e32 v15, v42, v43
	v_fmamk_f32 v27, v30, 0x3f5db3d7, v21
	v_dual_fmac_f32 v21, 0xbf5db3d7, v30 :: v_dual_add_f32 v30, v29, v31
	v_add_f32_e32 v28, v28, v43
	s_delay_alu instid0(VALU_DEP_4) | instskip(SKIP_4) | instid1(VALU_DEP_4)
	v_fma_f32 v0, -0.5, v15, v0
	v_sub_f32_e32 v15, v29, v31
	v_add_f32_e32 v29, v1, v29
	v_fmac_f32_e32 v1, -0.5, v30
	v_mad_co_u64_u32 v[43:44], null, s4, v129, 0
	v_fmamk_f32 v30, v15, 0xbf5db3d7, v0
	v_fmac_f32_e32 v0, 0x3f5db3d7, v15
	v_add_nc_u32_e32 v15, 0x800, v132
	v_add_f32_e32 v29, v29, v31
	v_fmamk_f32 v31, v32, 0x3f5db3d7, v1
	v_fmac_f32_e32 v1, 0xbf5db3d7, v32
	ds_store_b64 v130, v[5:6]
	ds_store_2addr_b64 v132, v[7:8], v[11:12] offset0:150 offset1:180
	ds_store_2addr_b64 v15, v[2:3], v[16:17] offset0:44 offset1:74
	;; [unrolled: 1-line block ×3, first 2 shown]
	ds_store_b64 v132, v[22:23] offset:1680
	ds_store_b64 v132, v[13:14] offset:2880
	v_add_nc_u32_e32 v2, 0x400, v76
	ds_store_b64 v130, v[24:25] offset:720
	ds_store_b64 v132, v[20:21] offset:3120
	;; [unrolled: 1-line block ×4, first 2 shown]
	ds_store_2addr_b64 v2, v[30:31], v[0:1] offset0:22 offset1:172
	global_wb scope:SCOPE_SE
	s_wait_dscnt 0x0
	s_barrier_signal -1
	s_barrier_wait -1
	global_inv scope:SCOPE_SE
	ds_load_2addr_b64 v[0:3], v130 offset1:45
	ds_load_2addr_b64 v[9:12], v130 offset0:180 offset1:225
	v_mad_co_u64_u32 v[15:16], null, s6, v108, 0
	s_wait_dscnt 0x1
	v_mul_f32_e32 v5, v120, v1
	v_mul_f32_e32 v19, v128, v3
	s_wait_dscnt 0x0
	v_mul_f32_e32 v29, v126, v10
	v_dual_mul_f32 v28, v126, v9 :: v_dual_mul_f32 v33, v112, v12
	v_fmac_f32_e32 v5, v119, v0
	v_dual_mul_f32 v0, v120, v0 :: v_dual_fmac_f32 v19, v127, v2
	s_delay_alu instid0(VALU_DEP_4) | instskip(NEXT) | instid1(VALU_DEP_4)
	v_fmac_f32_e32 v29, v125, v9
	v_fma_f32 v31, v125, v10, -v28
	s_delay_alu instid0(VALU_DEP_4)
	v_cvt_f64_f32_e32 v[13:14], v5
	ds_load_2addr_b64 v[5:8], v130 offset0:90 offset1:135
	v_fma_f32 v0, v119, v1, -v0
	v_mul_f32_e32 v1, v128, v2
	v_cvt_f64_f32_e32 v[19:20], v19
	v_mul_f32_e32 v34, v112, v11
	v_fmac_f32_e32 v33, v111, v11
	v_cvt_f64_f32_e32 v[17:18], v0
	v_fma_f32 v21, v127, v3, -v1
	ds_load_2addr_b64 v[0:3], v4 offset0:14 offset1:59
	v_fma_f32 v11, v111, v12, -v34
	v_cvt_f64_f32_e32 v[31:32], v31
	v_cvt_f64_f32_e32 v[21:22], v21
	s_delay_alu instid0(VALU_DEP_3) | instskip(SKIP_3) | instid1(VALU_DEP_2)
	v_cvt_f64_f32_e32 v[11:12], v11
	s_wait_dscnt 0x1
	v_mul_f32_e32 v23, v114, v6
	v_mul_f32_e32 v27, v118, v8
	v_fmac_f32_e32 v23, v113, v5
	v_mul_f32_e32 v5, v114, v5
	s_delay_alu instid0(VALU_DEP_3)
	v_fmac_f32_e32 v27, v117, v7
	s_wait_dscnt 0x0
	v_mul_f32_e32 v37, v110, v3
	v_mul_f32_e32 v35, v116, v1
	v_cvt_f64_f32_e32 v[23:24], v23
	v_fma_f32 v5, v113, v6, -v5
	v_mul_f32_e32 v6, v118, v7
	v_cvt_f64_f32_e32 v[9:10], v27
	v_dual_mul_f32 v36, v116, v0 :: v_dual_fmac_f32 v37, v109, v2
	s_delay_alu instid0(VALU_DEP_4) | instskip(NEXT) | instid1(VALU_DEP_4)
	v_cvt_f64_f32_e32 v[25:26], v5
	v_fma_f32 v30, v117, v8, -v6
	ds_load_2addr_b64 v[5:8], v4 offset0:104 offset1:149
	v_dual_mul_f32 v2, v110, v2 :: v_dual_fmac_f32 v35, v115, v0
	v_fma_f32 v36, v115, v1, -v36
	v_cvt_f64_f32_e32 v[27:28], v30
	v_cvt_f64_f32_e32 v[29:30], v29
	s_wait_alu 0xfffe
	v_mul_f64_e32 v[17:18], s[2:3], v[17:18]
	v_fma_f32 v2, v109, v3, -v2
	v_cvt_f64_f32_e32 v[0:1], v33
	v_cvt_f64_f32_e32 v[33:34], v35
	;; [unrolled: 1-line block ×5, first 2 shown]
	v_mul_f64_e32 v[13:14], s[2:3], v[13:14]
	v_mul_f64_e32 v[19:20], s[2:3], v[19:20]
	;; [unrolled: 1-line block ×5, first 2 shown]
	s_wait_dscnt 0x0
	v_mul_f32_e32 v39, v122, v6
	v_dual_mul_f32 v40, v122, v5 :: v_dual_mul_f32 v41, v124, v8
	s_delay_alu instid0(VALU_DEP_2) | instskip(NEXT) | instid1(VALU_DEP_2)
	v_dual_mul_f32 v42, v124, v7 :: v_dual_fmac_f32 v39, v121, v5
	v_fma_f32 v40, v121, v6, -v40
	s_delay_alu instid0(VALU_DEP_3) | instskip(NEXT) | instid1(VALU_DEP_3)
	v_fmac_f32_e32 v41, v123, v7
	v_fma_f32 v42, v123, v8, -v42
	s_delay_alu instid0(VALU_DEP_4) | instskip(NEXT) | instid1(VALU_DEP_4)
	v_cvt_f64_f32_e32 v[5:6], v39
	v_cvt_f64_f32_e32 v[7:8], v40
	s_delay_alu instid0(VALU_DEP_4) | instskip(NEXT) | instid1(VALU_DEP_4)
	v_cvt_f64_f32_e32 v[39:40], v41
	v_cvt_f64_f32_e32 v[41:42], v42
	v_mul_f64_e32 v[23:24], s[2:3], v[23:24]
	v_mul_f64_e32 v[9:10], s[2:3], v[9:10]
	;; [unrolled: 1-line block ×5, first 2 shown]
	v_mad_co_u64_u32 v[45:46], null, s7, v108, v[16:17]
	v_mov_b32_e32 v16, v44
	v_mul_f64_e32 v[0:1], s[2:3], v[0:1]
	v_mul_f64_e32 v[33:34], s[2:3], v[33:34]
	;; [unrolled: 1-line block ×4, first 2 shown]
	v_mad_co_u64_u32 v[46:47], null, s5, v129, v[16:17]
	v_mov_b32_e32 v16, v45
	v_mul_f64_e32 v[2:3], s[2:3], v[2:3]
	v_cvt_f32_f64_e32 v13, v[13:14]
	s_delay_alu instid0(VALU_DEP_3) | instskip(SKIP_1) | instid1(VALU_DEP_2)
	v_lshlrev_b64_e32 v[14:15], 3, v[15:16]
	v_mov_b32_e32 v44, v46
	v_add_co_u32 v16, s0, s10, v14
	v_cvt_f32_f64_e32 v14, v[17:18]
	s_delay_alu instid0(VALU_DEP_3)
	v_lshlrev_b64_e32 v[43:44], 3, v[43:44]
	v_mul_f64_e32 v[5:6], s[2:3], v[5:6]
	v_mul_f64_e32 v[7:8], s[2:3], v[7:8]
	;; [unrolled: 1-line block ×4, first 2 shown]
	s_wait_alu 0xf1ff
	v_add_co_ci_u32_e64 v45, s0, s11, v15, s0
	v_cvt_f32_f64_e32 v17, v[19:20]
	v_cvt_f32_f64_e32 v18, v[21:22]
	v_add_co_u32 v15, s0, v16, v43
	s_wait_alu 0xf1ff
	v_add_co_ci_u32_e64 v16, s0, v45, v44, s0
	s_mul_u64 s[0:1], s[4:5], 45
	v_cvt_f32_f64_e32 v21, v[23:24]
	v_cvt_f32_f64_e32 v22, v[25:26]
	;; [unrolled: 1-line block ×4, first 2 shown]
	s_wait_alu 0xfffe
	s_lshl_b64 s[6:7], s[0:1], 3
	v_cvt_f32_f64_e32 v25, v[29:30]
	s_wait_alu 0xfffe
	v_add_co_u32 v19, s0, v15, s6
	s_wait_alu 0xf1ff
	v_add_co_ci_u32_e64 v20, s0, s7, v16, s0
	v_cvt_f32_f64_e32 v26, v[31:32]
	s_delay_alu instid0(VALU_DEP_3) | instskip(SKIP_1) | instid1(VALU_DEP_3)
	v_add_co_u32 v23, s0, v19, s6
	s_wait_alu 0xf1ff
	v_add_co_ci_u32_e64 v24, s0, s7, v20, s0
	v_cvt_f32_f64_e32 v27, v[0:1]
	v_cvt_f32_f64_e32 v28, v[11:12]
	v_cvt_f32_f64_e32 v11, v[33:34]
	v_cvt_f32_f64_e32 v12, v[35:36]
	v_add_co_u32 v0, s0, v23, s6
	v_cvt_f32_f64_e32 v29, v[37:38]
	v_cvt_f32_f64_e32 v30, v[2:3]
	s_wait_alu 0xf1ff
	v_add_co_ci_u32_e64 v1, s0, s7, v24, s0
	v_cvt_f32_f64_e32 v2, v[5:6]
	v_cvt_f32_f64_e32 v3, v[7:8]
	;; [unrolled: 1-line block ×4, first 2 shown]
	v_add_co_u32 v7, s0, v0, s6
	s_wait_alu 0xf1ff
	v_add_co_ci_u32_e64 v8, s0, s7, v1, s0
	global_store_b64 v[15:16], v[13:14], off
	v_add_co_u32 v13, s0, v7, s6
	s_wait_alu 0xf1ff
	v_add_co_ci_u32_e64 v14, s0, s7, v8, s0
	global_store_b64 v[19:20], v[17:18], off
	;; [unrolled: 4-line block ×6, first 2 shown]
	global_store_b64 v[15:16], v[11:12], off
	global_store_b64 v[17:18], v[29:30], off
	;; [unrolled: 1-line block ×4, first 2 shown]
	s_and_b32 exec_lo, exec_lo, vcc_lo
	s_cbranch_execz .LBB0_15
; %bb.14:
	global_load_b64 v[2:3], v[106:107], off offset:240
	ds_load_2addr_b64 v[5:8], v132 offset0:30 offset1:120
	s_mul_i32 s0, s5, 0xfffff448
	s_wait_alu 0xfffe
	s_sub_co_i32 s0, s0, s4
	s_wait_loadcnt_dscnt 0x0
	v_mul_f32_e32 v9, v6, v3
	v_mul_f32_e32 v3, v5, v3
	s_delay_alu instid0(VALU_DEP_2) | instskip(NEXT) | instid1(VALU_DEP_2)
	v_fmac_f32_e32 v9, v5, v2
	v_fma_f32 v5, v2, v6, -v3
	s_delay_alu instid0(VALU_DEP_2) | instskip(NEXT) | instid1(VALU_DEP_2)
	v_cvt_f64_f32_e32 v[2:3], v9
	v_cvt_f64_f32_e32 v[5:6], v5
	s_delay_alu instid0(VALU_DEP_2) | instskip(NEXT) | instid1(VALU_DEP_2)
	v_mul_f64_e32 v[2:3], s[2:3], v[2:3]
	v_mul_f64_e32 v[5:6], s[2:3], v[5:6]
	s_delay_alu instid0(VALU_DEP_2) | instskip(NEXT) | instid1(VALU_DEP_2)
	v_cvt_f32_f64_e32 v2, v[2:3]
	v_cvt_f32_f64_e32 v3, v[5:6]
	v_mad_co_u64_u32 v[5:6], null, 0xfffff448, s4, v[0:1]
	s_wait_alu 0xfffe
	s_delay_alu instid0(VALU_DEP_1)
	v_add_nc_u32_e32 v6, s0, v6
	global_store_b64 v[5:6], v[2:3], off
	global_load_b64 v[9:10], v[106:107], off offset:600
	ds_load_2addr_b64 v[0:3], v130 offset0:75 offset1:165
	v_add_co_u32 v5, vcc_lo, v5, s6
	s_wait_alu 0xfffd
	v_add_co_ci_u32_e32 v6, vcc_lo, s7, v6, vcc_lo
	s_wait_loadcnt_dscnt 0x0
	v_mul_f32_e32 v11, v1, v10
	v_mul_f32_e32 v10, v0, v10
	s_delay_alu instid0(VALU_DEP_2) | instskip(NEXT) | instid1(VALU_DEP_2)
	v_fmac_f32_e32 v11, v0, v9
	v_fma_f32 v9, v9, v1, -v10
	s_delay_alu instid0(VALU_DEP_2) | instskip(NEXT) | instid1(VALU_DEP_2)
	v_cvt_f64_f32_e32 v[0:1], v11
	v_cvt_f64_f32_e32 v[9:10], v9
	s_delay_alu instid0(VALU_DEP_2) | instskip(NEXT) | instid1(VALU_DEP_2)
	v_mul_f64_e32 v[0:1], s[2:3], v[0:1]
	v_mul_f64_e32 v[9:10], s[2:3], v[9:10]
	s_delay_alu instid0(VALU_DEP_2) | instskip(NEXT) | instid1(VALU_DEP_2)
	v_cvt_f32_f64_e32 v0, v[0:1]
	v_cvt_f32_f64_e32 v1, v[9:10]
	global_store_b64 v[5:6], v[0:1], off
	global_load_b64 v[0:1], v[106:107], off offset:960
	v_add_co_u32 v5, vcc_lo, v5, s6
	s_wait_alu 0xfffd
	v_add_co_ci_u32_e32 v6, vcc_lo, s7, v6, vcc_lo
	s_wait_loadcnt 0x0
	v_mul_f32_e32 v9, v8, v1
	v_mul_f32_e32 v1, v7, v1
	s_delay_alu instid0(VALU_DEP_2) | instskip(NEXT) | instid1(VALU_DEP_2)
	v_fmac_f32_e32 v9, v7, v0
	v_fma_f32 v7, v0, v8, -v1
	s_delay_alu instid0(VALU_DEP_2) | instskip(NEXT) | instid1(VALU_DEP_2)
	v_cvt_f64_f32_e32 v[0:1], v9
	v_cvt_f64_f32_e32 v[7:8], v7
	s_delay_alu instid0(VALU_DEP_2) | instskip(NEXT) | instid1(VALU_DEP_2)
	v_mul_f64_e32 v[0:1], s[2:3], v[0:1]
	v_mul_f64_e32 v[7:8], s[2:3], v[7:8]
	s_delay_alu instid0(VALU_DEP_2) | instskip(NEXT) | instid1(VALU_DEP_2)
	v_cvt_f32_f64_e32 v0, v[0:1]
	v_cvt_f32_f64_e32 v1, v[7:8]
	global_store_b64 v[5:6], v[0:1], off
	global_load_b64 v[0:1], v[106:107], off offset:1320
	v_add_co_u32 v5, vcc_lo, v5, s6
	s_wait_alu 0xfffd
	v_add_co_ci_u32_e32 v6, vcc_lo, s7, v6, vcc_lo
	s_wait_loadcnt 0x0
	v_mul_f32_e32 v7, v3, v1
	v_mul_f32_e32 v1, v2, v1
	s_delay_alu instid0(VALU_DEP_2) | instskip(NEXT) | instid1(VALU_DEP_2)
	v_fmac_f32_e32 v7, v2, v0
	v_fma_f32 v2, v0, v3, -v1
	s_delay_alu instid0(VALU_DEP_2) | instskip(NEXT) | instid1(VALU_DEP_2)
	v_cvt_f64_f32_e32 v[0:1], v7
	v_cvt_f64_f32_e32 v[2:3], v2
	s_delay_alu instid0(VALU_DEP_2) | instskip(NEXT) | instid1(VALU_DEP_2)
	v_mul_f64_e32 v[0:1], s[2:3], v[0:1]
	v_mul_f64_e32 v[2:3], s[2:3], v[2:3]
	s_delay_alu instid0(VALU_DEP_2) | instskip(NEXT) | instid1(VALU_DEP_2)
	v_cvt_f32_f64_e32 v0, v[0:1]
	v_cvt_f32_f64_e32 v1, v[2:3]
	global_store_b64 v[5:6], v[0:1], off
	global_load_b64 v[7:8], v[106:107], off offset:1680
	ds_load_2addr_b64 v[0:3], v130 offset0:210 offset1:255
	v_add_co_u32 v5, vcc_lo, v5, s6
	s_wait_alu 0xfffd
	v_add_co_ci_u32_e32 v6, vcc_lo, s7, v6, vcc_lo
	s_wait_loadcnt_dscnt 0x0
	v_mul_f32_e32 v9, v1, v8
	v_mul_f32_e32 v8, v0, v8
	s_delay_alu instid0(VALU_DEP_2) | instskip(NEXT) | instid1(VALU_DEP_2)
	v_fmac_f32_e32 v9, v0, v7
	v_fma_f32 v7, v7, v1, -v8
	s_delay_alu instid0(VALU_DEP_2) | instskip(NEXT) | instid1(VALU_DEP_2)
	v_cvt_f64_f32_e32 v[0:1], v9
	v_cvt_f64_f32_e32 v[7:8], v7
	s_delay_alu instid0(VALU_DEP_2) | instskip(NEXT) | instid1(VALU_DEP_2)
	v_mul_f64_e32 v[0:1], s[2:3], v[0:1]
	v_mul_f64_e32 v[7:8], s[2:3], v[7:8]
	s_delay_alu instid0(VALU_DEP_2) | instskip(NEXT) | instid1(VALU_DEP_2)
	v_cvt_f32_f64_e32 v0, v[0:1]
	v_cvt_f32_f64_e32 v1, v[7:8]
	global_store_b64 v[5:6], v[0:1], off
	global_load_b64 v[0:1], v[106:107], off offset:2040
	v_add_co_u32 v5, vcc_lo, v5, s6
	s_wait_alu 0xfffd
	v_add_co_ci_u32_e32 v6, vcc_lo, s7, v6, vcc_lo
	s_wait_loadcnt 0x0
	v_mul_f32_e32 v7, v3, v1
	v_mul_f32_e32 v1, v2, v1
	s_delay_alu instid0(VALU_DEP_2) | instskip(NEXT) | instid1(VALU_DEP_2)
	v_fmac_f32_e32 v7, v2, v0
	v_fma_f32 v2, v0, v3, -v1
	s_delay_alu instid0(VALU_DEP_2) | instskip(NEXT) | instid1(VALU_DEP_2)
	v_cvt_f64_f32_e32 v[0:1], v7
	v_cvt_f64_f32_e32 v[2:3], v2
	s_delay_alu instid0(VALU_DEP_2) | instskip(NEXT) | instid1(VALU_DEP_2)
	v_mul_f64_e32 v[0:1], s[2:3], v[0:1]
	v_mul_f64_e32 v[2:3], s[2:3], v[2:3]
	s_delay_alu instid0(VALU_DEP_2) | instskip(NEXT) | instid1(VALU_DEP_2)
	v_cvt_f32_f64_e32 v0, v[0:1]
	v_cvt_f32_f64_e32 v1, v[2:3]
	global_store_b64 v[5:6], v[0:1], off
	global_load_b64 v[7:8], v[106:107], off offset:2400
	ds_load_2addr_b64 v[0:3], v4 offset0:44 offset1:89
	v_add_co_u32 v5, vcc_lo, v5, s6
	s_wait_alu 0xfffd
	v_add_co_ci_u32_e32 v6, vcc_lo, s7, v6, vcc_lo
	s_wait_loadcnt_dscnt 0x0
	v_mul_f32_e32 v9, v1, v8
	v_mul_f32_e32 v8, v0, v8
	s_delay_alu instid0(VALU_DEP_2) | instskip(NEXT) | instid1(VALU_DEP_2)
	v_fmac_f32_e32 v9, v0, v7
	v_fma_f32 v7, v7, v1, -v8
	s_delay_alu instid0(VALU_DEP_2) | instskip(NEXT) | instid1(VALU_DEP_2)
	v_cvt_f64_f32_e32 v[0:1], v9
	v_cvt_f64_f32_e32 v[7:8], v7
	s_delay_alu instid0(VALU_DEP_2) | instskip(NEXT) | instid1(VALU_DEP_2)
	v_mul_f64_e32 v[0:1], s[2:3], v[0:1]
	v_mul_f64_e32 v[7:8], s[2:3], v[7:8]
	s_delay_alu instid0(VALU_DEP_2) | instskip(NEXT) | instid1(VALU_DEP_2)
	v_cvt_f32_f64_e32 v0, v[0:1]
	v_cvt_f32_f64_e32 v1, v[7:8]
	global_store_b64 v[5:6], v[0:1], off
	global_load_b64 v[0:1], v[106:107], off offset:2760
	v_add_co_u32 v5, vcc_lo, v5, s6
	s_wait_alu 0xfffd
	v_add_co_ci_u32_e32 v6, vcc_lo, s7, v6, vcc_lo
	s_wait_loadcnt 0x0
	v_mul_f32_e32 v7, v3, v1
	v_mul_f32_e32 v1, v2, v1
	s_delay_alu instid0(VALU_DEP_2) | instskip(NEXT) | instid1(VALU_DEP_2)
	v_fmac_f32_e32 v7, v2, v0
	v_fma_f32 v2, v0, v3, -v1
	s_delay_alu instid0(VALU_DEP_2) | instskip(NEXT) | instid1(VALU_DEP_2)
	v_cvt_f64_f32_e32 v[0:1], v7
	v_cvt_f64_f32_e32 v[2:3], v2
	s_delay_alu instid0(VALU_DEP_2) | instskip(NEXT) | instid1(VALU_DEP_2)
	v_mul_f64_e32 v[0:1], s[2:3], v[0:1]
	v_mul_f64_e32 v[2:3], s[2:3], v[2:3]
	s_delay_alu instid0(VALU_DEP_2) | instskip(NEXT) | instid1(VALU_DEP_2)
	v_cvt_f32_f64_e32 v0, v[0:1]
	v_cvt_f32_f64_e32 v1, v[2:3]
	global_store_b64 v[5:6], v[0:1], off
	global_load_b64 v[7:8], v[106:107], off offset:3120
	ds_load_2addr_b64 v[0:3], v4 offset0:134 offset1:179
	s_wait_loadcnt_dscnt 0x0
	v_mul_f32_e32 v4, v1, v8
	v_mul_f32_e32 v8, v0, v8
	s_delay_alu instid0(VALU_DEP_2) | instskip(NEXT) | instid1(VALU_DEP_2)
	v_fmac_f32_e32 v4, v0, v7
	v_fma_f32 v7, v7, v1, -v8
	s_delay_alu instid0(VALU_DEP_2) | instskip(NEXT) | instid1(VALU_DEP_2)
	v_cvt_f64_f32_e32 v[0:1], v4
	v_cvt_f64_f32_e32 v[7:8], v7
	v_add_co_u32 v4, vcc_lo, v5, s6
	s_wait_alu 0xfffd
	v_add_co_ci_u32_e32 v5, vcc_lo, s7, v6, vcc_lo
	s_delay_alu instid0(VALU_DEP_4) | instskip(NEXT) | instid1(VALU_DEP_4)
	v_mul_f64_e32 v[0:1], s[2:3], v[0:1]
	v_mul_f64_e32 v[7:8], s[2:3], v[7:8]
	s_delay_alu instid0(VALU_DEP_2) | instskip(NEXT) | instid1(VALU_DEP_2)
	v_cvt_f32_f64_e32 v0, v[0:1]
	v_cvt_f32_f64_e32 v1, v[7:8]
	global_store_b64 v[4:5], v[0:1], off
	global_load_b64 v[0:1], v[106:107], off offset:3480
	s_wait_loadcnt 0x0
	v_mul_f32_e32 v6, v3, v1
	v_mul_f32_e32 v1, v2, v1
	s_delay_alu instid0(VALU_DEP_2) | instskip(NEXT) | instid1(VALU_DEP_2)
	v_fmac_f32_e32 v6, v2, v0
	v_fma_f32 v2, v0, v3, -v1
	s_delay_alu instid0(VALU_DEP_2) | instskip(NEXT) | instid1(VALU_DEP_2)
	v_cvt_f64_f32_e32 v[0:1], v6
	v_cvt_f64_f32_e32 v[2:3], v2
	s_delay_alu instid0(VALU_DEP_2) | instskip(NEXT) | instid1(VALU_DEP_2)
	v_mul_f64_e32 v[0:1], s[2:3], v[0:1]
	v_mul_f64_e32 v[2:3], s[2:3], v[2:3]
	s_delay_alu instid0(VALU_DEP_2) | instskip(NEXT) | instid1(VALU_DEP_2)
	v_cvt_f32_f64_e32 v0, v[0:1]
	v_cvt_f32_f64_e32 v1, v[2:3]
	v_add_co_u32 v2, vcc_lo, v4, s6
	s_wait_alu 0xfffd
	v_add_co_ci_u32_e32 v3, vcc_lo, s7, v5, vcc_lo
	global_store_b64 v[2:3], v[0:1], off
.LBB0_15:
	s_nop 0
	s_sendmsg sendmsg(MSG_DEALLOC_VGPRS)
	s_endpgm
	.section	.rodata,"a",@progbits
	.p2align	6, 0x0
	.amdhsa_kernel bluestein_single_back_len450_dim1_sp_op_CI_CI
		.amdhsa_group_segment_fixed_size 14400
		.amdhsa_private_segment_fixed_size 0
		.amdhsa_kernarg_size 104
		.amdhsa_user_sgpr_count 2
		.amdhsa_user_sgpr_dispatch_ptr 0
		.amdhsa_user_sgpr_queue_ptr 0
		.amdhsa_user_sgpr_kernarg_segment_ptr 1
		.amdhsa_user_sgpr_dispatch_id 0
		.amdhsa_user_sgpr_private_segment_size 0
		.amdhsa_wavefront_size32 1
		.amdhsa_uses_dynamic_stack 0
		.amdhsa_enable_private_segment 0
		.amdhsa_system_sgpr_workgroup_id_x 1
		.amdhsa_system_sgpr_workgroup_id_y 0
		.amdhsa_system_sgpr_workgroup_id_z 0
		.amdhsa_system_sgpr_workgroup_info 0
		.amdhsa_system_vgpr_workitem_id 0
		.amdhsa_next_free_vgpr 175
		.amdhsa_next_free_sgpr 16
		.amdhsa_reserve_vcc 1
		.amdhsa_float_round_mode_32 0
		.amdhsa_float_round_mode_16_64 0
		.amdhsa_float_denorm_mode_32 3
		.amdhsa_float_denorm_mode_16_64 3
		.amdhsa_fp16_overflow 0
		.amdhsa_workgroup_processor_mode 1
		.amdhsa_memory_ordered 1
		.amdhsa_forward_progress 0
		.amdhsa_round_robin_scheduling 0
		.amdhsa_exception_fp_ieee_invalid_op 0
		.amdhsa_exception_fp_denorm_src 0
		.amdhsa_exception_fp_ieee_div_zero 0
		.amdhsa_exception_fp_ieee_overflow 0
		.amdhsa_exception_fp_ieee_underflow 0
		.amdhsa_exception_fp_ieee_inexact 0
		.amdhsa_exception_int_div_zero 0
	.end_amdhsa_kernel
	.text
.Lfunc_end0:
	.size	bluestein_single_back_len450_dim1_sp_op_CI_CI, .Lfunc_end0-bluestein_single_back_len450_dim1_sp_op_CI_CI
                                        ; -- End function
	.section	.AMDGPU.csdata,"",@progbits
; Kernel info:
; codeLenInByte = 16512
; NumSgprs: 18
; NumVgprs: 175
; ScratchSize: 0
; MemoryBound: 0
; FloatMode: 240
; IeeeMode: 1
; LDSByteSize: 14400 bytes/workgroup (compile time only)
; SGPRBlocks: 2
; VGPRBlocks: 21
; NumSGPRsForWavesPerEU: 18
; NumVGPRsForWavesPerEU: 175
; Occupancy: 8
; WaveLimiterHint : 1
; COMPUTE_PGM_RSRC2:SCRATCH_EN: 0
; COMPUTE_PGM_RSRC2:USER_SGPR: 2
; COMPUTE_PGM_RSRC2:TRAP_HANDLER: 0
; COMPUTE_PGM_RSRC2:TGID_X_EN: 1
; COMPUTE_PGM_RSRC2:TGID_Y_EN: 0
; COMPUTE_PGM_RSRC2:TGID_Z_EN: 0
; COMPUTE_PGM_RSRC2:TIDIG_COMP_CNT: 0
	.text
	.p2alignl 7, 3214868480
	.fill 96, 4, 3214868480
	.type	__hip_cuid_1d5baba5e769b2e1,@object ; @__hip_cuid_1d5baba5e769b2e1
	.section	.bss,"aw",@nobits
	.globl	__hip_cuid_1d5baba5e769b2e1
__hip_cuid_1d5baba5e769b2e1:
	.byte	0                               ; 0x0
	.size	__hip_cuid_1d5baba5e769b2e1, 1

	.ident	"AMD clang version 19.0.0git (https://github.com/RadeonOpenCompute/llvm-project roc-6.4.0 25133 c7fe45cf4b819c5991fe208aaa96edf142730f1d)"
	.section	".note.GNU-stack","",@progbits
	.addrsig
	.addrsig_sym __hip_cuid_1d5baba5e769b2e1
	.amdgpu_metadata
---
amdhsa.kernels:
  - .args:
      - .actual_access:  read_only
        .address_space:  global
        .offset:         0
        .size:           8
        .value_kind:     global_buffer
      - .actual_access:  read_only
        .address_space:  global
        .offset:         8
        .size:           8
        .value_kind:     global_buffer
      - .actual_access:  read_only
        .address_space:  global
        .offset:         16
        .size:           8
        .value_kind:     global_buffer
      - .actual_access:  read_only
        .address_space:  global
        .offset:         24
        .size:           8
        .value_kind:     global_buffer
      - .actual_access:  read_only
        .address_space:  global
        .offset:         32
        .size:           8
        .value_kind:     global_buffer
      - .offset:         40
        .size:           8
        .value_kind:     by_value
      - .address_space:  global
        .offset:         48
        .size:           8
        .value_kind:     global_buffer
      - .address_space:  global
        .offset:         56
        .size:           8
        .value_kind:     global_buffer
      - .address_space:  global
        .offset:         64
        .size:           8
        .value_kind:     global_buffer
      - .address_space:  global
        .offset:         72
        .size:           8
        .value_kind:     global_buffer
      - .offset:         80
        .size:           4
        .value_kind:     by_value
      - .address_space:  global
        .offset:         88
        .size:           8
        .value_kind:     global_buffer
      - .address_space:  global
        .offset:         96
        .size:           8
        .value_kind:     global_buffer
    .group_segment_fixed_size: 14400
    .kernarg_segment_align: 8
    .kernarg_segment_size: 104
    .language:       OpenCL C
    .language_version:
      - 2
      - 0
    .max_flat_workgroup_size: 120
    .name:           bluestein_single_back_len450_dim1_sp_op_CI_CI
    .private_segment_fixed_size: 0
    .sgpr_count:     18
    .sgpr_spill_count: 0
    .symbol:         bluestein_single_back_len450_dim1_sp_op_CI_CI.kd
    .uniform_work_group_size: 1
    .uses_dynamic_stack: false
    .vgpr_count:     175
    .vgpr_spill_count: 0
    .wavefront_size: 32
    .workgroup_processor_mode: 1
amdhsa.target:   amdgcn-amd-amdhsa--gfx1201
amdhsa.version:
  - 1
  - 2
...

	.end_amdgpu_metadata
